;; amdgpu-corpus repo=ROCm/rocFFT kind=compiled arch=gfx906 opt=O3
	.text
	.amdgcn_target "amdgcn-amd-amdhsa--gfx906"
	.amdhsa_code_object_version 6
	.protected	bluestein_single_back_len375_dim1_half_op_CI_CI ; -- Begin function bluestein_single_back_len375_dim1_half_op_CI_CI
	.globl	bluestein_single_back_len375_dim1_half_op_CI_CI
	.p2align	8
	.type	bluestein_single_back_len375_dim1_half_op_CI_CI,@function
bluestein_single_back_len375_dim1_half_op_CI_CI: ; @bluestein_single_back_len375_dim1_half_op_CI_CI
; %bb.0:
	v_mul_u32_u24_e32 v1, 0xa3e, v0
	s_load_dwordx4 s[16:19], s[4:5], 0x28
	v_lshrrev_b32_e32 v1, 16, v1
	v_mad_u64_u32 v[20:21], s[0:1], s6, 5, v[1:2]
	v_mov_b32_e32 v21, 0
	s_waitcnt lgkmcnt(0)
	v_cmp_gt_u64_e32 vcc, s[16:17], v[20:21]
	s_and_saveexec_b64 s[0:1], vcc
	s_cbranch_execz .LBB0_2
; %bb.1:
	s_load_dwordx4 s[8:11], s[4:5], 0x18
	s_load_dwordx4 s[0:3], s[4:5], 0x0
	v_mul_lo_u16_e32 v1, 25, v1
	v_sub_u16_e32 v48, v0, v1
	v_mov_b32_e32 v7, s19
	s_waitcnt lgkmcnt(0)
	s_load_dwordx4 s[12:15], s[8:9], 0x0
	v_lshlrev_b32_e32 v51, 2, v48
	global_load_dword v50, v51, s[0:1]
	v_mov_b32_e32 v34, 0xfffffbb4
	s_mov_b32 s17, 0xffff
	s_waitcnt lgkmcnt(0)
	v_mad_u64_u32 v[0:1], s[6:7], s14, v20, 0
	v_mad_u64_u32 v[2:3], s[6:7], s12, v48, 0
	s_mul_i32 s8, s13, 0x12c
	s_mul_hi_u32 s14, s12, 0x12c
	v_mad_u64_u32 v[4:5], s[6:7], s15, v20, v[1:2]
	s_mul_i32 s15, s12, 0x12c
	v_mov_b32_e32 v28, 4
	v_mad_u64_u32 v[5:6], s[6:7], s13, v48, v[3:4]
	v_mov_b32_e32 v1, v4
	v_lshlrev_b64 v[0:1], 2, v[0:1]
	v_mov_b32_e32 v3, v5
	v_add_co_u32_e32 v4, vcc, s18, v0
	v_addc_co_u32_e32 v5, vcc, v7, v1, vcc
	v_lshlrev_b64 v[0:1], 2, v[2:3]
	s_add_u32 s6, s0, 0x5dc
	v_add_co_u32_e32 v0, vcc, v4, v0
	s_addc_u32 s7, s1, 0
	v_addc_co_u32_e32 v1, vcc, v5, v1, vcc
	s_add_i32 s14, s14, s8
	global_load_dword v6, v[0:1], off
	v_mov_b32_e32 v2, s14
	v_add_co_u32_e32 v0, vcc, s15, v0
	v_addc_co_u32_e32 v1, vcc, v1, v2, vcc
	global_load_dword v7, v[0:1], off
	global_load_dword v47, v51, s[0:1] offset:300
	v_add_co_u32_e32 v0, vcc, s15, v0
	v_addc_co_u32_e32 v1, vcc, v1, v2, vcc
	global_load_dword v8, v[0:1], off
	global_load_dword v46, v51, s[0:1] offset:600
	s_mov_b32 s8, 0xcccccccd
	v_mul_hi_u32 v2, v20, s8
	v_add_co_u32_e32 v0, vcc, s15, v0
	s_load_dwordx4 s[8:11], s[10:11], 0x0
	v_lshrrev_b32_e32 v2, 2, v2
	v_lshl_add_u32 v2, v2, 2, v2
	v_sub_u32_e32 v2, v20, v2
	v_mul_u32_u24_e32 v2, 0x177, v2
	v_lshlrev_b32_e32 v21, 2, v2
	v_mov_b32_e32 v2, s14
	v_addc_co_u32_e32 v1, vcc, v1, v2, vcc
	global_load_dword v45, v51, s[0:1] offset:900
	global_load_dword v44, v51, s[0:1] offset:1200
	;; [unrolled: 1-line block ×7, first 2 shown]
	global_load_dword v10, v[0:1], off
	v_mov_b32_e32 v3, s14
	v_add_co_u32_e32 v2, vcc, s15, v0
	v_addc_co_u32_e32 v3, vcc, v1, v3, vcc
	v_mad_u64_u32 v[4:5], s[18:19], s12, v34, v[2:3]
	global_load_dword v2, v[2:3], off
	s_mulk_i32 s13, 0xfbb4
	s_sub_i32 s16, s13, s12
	v_add_u32_e32 v5, s16, v5
	global_load_dword v3, v[4:5], off
	v_mov_b32_e32 v9, s14
	v_add_co_u32_e32 v0, vcc, s15, v4
	v_addc_co_u32_e32 v1, vcc, v5, v9, vcc
	global_load_dword v4, v[0:1], off
	v_mov_b32_e32 v11, s14
	v_add_co_u32_e32 v0, vcc, s15, v0
	v_add_u32_e32 v31, v51, v21
	v_addc_co_u32_e32 v1, vcc, v1, v11, vcc
	v_mov_b32_e32 v14, s14
	v_mov_b32_e32 v15, s14
	;; [unrolled: 1-line block ×3, first 2 shown]
	v_add_u32_e32 v43, 0x200, v31
	v_add_u32_e32 v49, 0x400, v31
	s_movk_i32 s18, 0xcd
	s_mov_b32 s19, 0xbaee
	s_load_dwordx2 s[4:5], s[4:5], 0x38
	s_waitcnt vmcnt(15)
	v_lshrrev_b32_e32 v5, 16, v6
	v_mul_f16_sdwa v9, v50, v6 dst_sel:DWORD dst_unused:UNUSED_PAD src0_sel:WORD_1 src1_sel:DWORD
	v_mul_f16_sdwa v12, v50, v5 dst_sel:DWORD dst_unused:UNUSED_PAD src0_sel:WORD_1 src1_sel:DWORD
	v_fma_f16 v5, v50, v5, -v9
	v_fma_f16 v6, v50, v6, v12
	s_waitcnt vmcnt(14)
	v_lshrrev_b32_e32 v9, 16, v7
	s_waitcnt vmcnt(13)
	v_mul_f16_sdwa v13, v47, v7 dst_sel:DWORD dst_unused:UNUSED_PAD src0_sel:WORD_1 src1_sel:DWORD
	v_mul_f16_sdwa v12, v47, v9 dst_sel:DWORD dst_unused:UNUSED_PAD src0_sel:WORD_1 src1_sel:DWORD
	v_fma_f16 v9, v47, v9, -v13
	v_pack_b32_f16 v5, v6, v5
	v_fma_f16 v6, v47, v7, v12
	v_pack_b32_f16 v6, v6, v9
	ds_write_b32 v31, v6 offset:300
	global_load_dword v6, v[0:1], off
	v_mov_b32_e32 v7, s14
	v_add_co_u32_e32 v0, vcc, s15, v0
	v_addc_co_u32_e32 v1, vcc, v1, v7, vcc
	global_load_dword v7, v[0:1], off
	global_load_dword v39, v51, s[0:1] offset:1000
	v_mov_b32_e32 v9, s14
	v_add_co_u32_e32 v0, vcc, s15, v0
	v_addc_co_u32_e32 v1, vcc, v1, v9, vcc
	global_load_dword v9, v[0:1], off
	global_load_dword v38, v51, s[0:1] offset:1300
	v_mad_u64_u32 v[0:1], s[12:13], s12, v34, v[0:1]
	s_waitcnt vmcnt(17)
	v_lshrrev_b32_e32 v13, 16, v8
	s_waitcnt vmcnt(16)
	v_mul_f16_sdwa v11, v46, v13 dst_sel:DWORD dst_unused:UNUSED_PAD src0_sel:WORD_1 src1_sel:DWORD
	v_add_u32_e32 v1, s16, v1
	global_load_dword v12, v[0:1], off
	v_add_co_u32_e32 v0, vcc, s15, v0
	v_addc_co_u32_e32 v1, vcc, v1, v14, vcc
	global_load_dword v14, v[0:1], off
	v_add_co_u32_e32 v0, vcc, s15, v0
	v_addc_co_u32_e32 v1, vcc, v1, v15, vcc
	global_load_dword v15, v[0:1], off
	global_load_dword v32, v51, s[0:1] offset:1400
	global_load_dword v33, v51, s[0:1] offset:1100
	;; [unrolled: 1-line block ×3, first 2 shown]
	v_add_co_u32_e32 v0, vcc, s15, v0
	v_addc_co_u32_e32 v1, vcc, v1, v16, vcc
	v_fma_f16 v11, v46, v8, v11
	v_mul_f16_sdwa v8, v46, v8 dst_sel:DWORD dst_unused:UNUSED_PAD src0_sel:WORD_1 src1_sel:DWORD
	global_load_dword v16, v[0:1], off
	v_fma_f16 v8, v46, v13, -v8
	v_pack_b32_f16 v8, v11, v8
	v_mov_b32_e32 v11, s14
	v_add_co_u32_e32 v0, vcc, s15, v0
	v_addc_co_u32_e32 v1, vcc, v1, v11, vcc
	global_load_dword v0, v[0:1], off
	s_waitcnt vmcnt(16)
	v_lshrrev_b32_e32 v1, 16, v10
	ds_write_b32 v31, v8 offset:600
	v_mul_f16_sdwa v8, v45, v1 dst_sel:DWORD dst_unused:UNUSED_PAD src0_sel:WORD_1 src1_sel:DWORD
	v_fma_f16 v8, v45, v10, v8
	v_mul_f16_sdwa v10, v45, v10 dst_sel:DWORD dst_unused:UNUSED_PAD src0_sel:WORD_1 src1_sel:DWORD
	v_fma_f16 v1, v45, v1, -v10
	v_pack_b32_f16 v1, v8, v1
	ds_write_b32 v31, v1 offset:900
	s_waitcnt vmcnt(15)
	v_lshrrev_b32_e32 v1, 16, v2
	v_mul_f16_sdwa v8, v44, v1 dst_sel:DWORD dst_unused:UNUSED_PAD src0_sel:WORD_1 src1_sel:DWORD
	v_fma_f16 v8, v44, v2, v8
	v_mul_f16_sdwa v2, v44, v2 dst_sel:DWORD dst_unused:UNUSED_PAD src0_sel:WORD_1 src1_sel:DWORD
	v_fma_f16 v1, v44, v1, -v2
	v_pack_b32_f16 v1, v8, v1
	ds_write_b32 v31, v1 offset:1200
	s_waitcnt vmcnt(14)
	v_lshrrev_b32_e32 v1, 16, v3
	v_mul_f16_sdwa v2, v42, v1 dst_sel:DWORD dst_unused:UNUSED_PAD src0_sel:WORD_1 src1_sel:DWORD
	v_fma_f16 v2, v42, v3, v2
	v_mul_f16_sdwa v3, v42, v3 dst_sel:DWORD dst_unused:UNUSED_PAD src0_sel:WORD_1 src1_sel:DWORD
	v_fma_f16 v1, v42, v1, -v3
	v_pack_b32_f16 v1, v2, v1
	ds_write2_b32 v31, v5, v1 offset1:25
	s_waitcnt vmcnt(13)
	v_lshrrev_b32_e32 v1, 16, v4
	v_mul_f16_sdwa v2, v41, v1 dst_sel:DWORD dst_unused:UNUSED_PAD src0_sel:WORD_1 src1_sel:DWORD
	v_mul_f16_sdwa v3, v41, v4 dst_sel:DWORD dst_unused:UNUSED_PAD src0_sel:WORD_1 src1_sel:DWORD
	v_fma_f16 v2, v41, v4, v2
	v_fma_f16 v1, v41, v1, -v3
	v_pack_b32_f16 v1, v2, v1
	v_add_co_u32_e32 v22, vcc, 25, v48
	s_movk_i32 s12, 0x3b9c
	v_mul_u32_u24_e32 v10, 5, v22
	s_movk_i32 s13, 0x38b4
	v_lshl_add_u32 v53, v10, 2, v21
	s_movk_i32 s14, 0x34f2
	v_add_co_u32_e32 v25, vcc, 50, v48
	s_waitcnt vmcnt(12)
	v_lshrrev_b32_e32 v2, 16, v6
	v_mul_f16_sdwa v3, v40, v2 dst_sel:DWORD dst_unused:UNUSED_PAD src0_sel:WORD_1 src1_sel:DWORD
	v_mul_f16_sdwa v4, v40, v6 dst_sel:DWORD dst_unused:UNUSED_PAD src0_sel:WORD_1 src1_sel:DWORD
	v_fma_f16 v3, v40, v6, v3
	v_fma_f16 v2, v40, v2, -v4
	v_pack_b32_f16 v2, v3, v2
	s_waitcnt vmcnt(11)
	v_lshrrev_b32_e32 v3, 16, v7
	s_waitcnt vmcnt(10)
	v_mul_f16_sdwa v4, v39, v3 dst_sel:DWORD dst_unused:UNUSED_PAD src0_sel:WORD_1 src1_sel:DWORD
	v_mul_f16_sdwa v5, v39, v7 dst_sel:DWORD dst_unused:UNUSED_PAD src0_sel:WORD_1 src1_sel:DWORD
	v_fma_f16 v4, v39, v7, v4
	v_fma_f16 v3, v39, v3, -v5
	v_pack_b32_f16 v3, v4, v3
	s_waitcnt vmcnt(9)
	v_lshrrev_b32_e32 v4, 16, v9
	s_waitcnt vmcnt(8)
	v_mul_f16_sdwa v5, v38, v4 dst_sel:DWORD dst_unused:UNUSED_PAD src0_sel:WORD_1 src1_sel:DWORD
	v_mul_f16_sdwa v6, v38, v9 dst_sel:DWORD dst_unused:UNUSED_PAD src0_sel:WORD_1 src1_sel:DWORD
	v_fma_f16 v5, v38, v9, v5
	v_fma_f16 v4, v38, v4, -v6
	v_pack_b32_f16 v4, v5, v4
	s_waitcnt vmcnt(7)
	v_lshrrev_b32_e32 v5, 16, v12
	v_mul_f16_sdwa v6, v37, v5 dst_sel:DWORD dst_unused:UNUSED_PAD src0_sel:WORD_1 src1_sel:DWORD
	v_mul_f16_sdwa v7, v37, v12 dst_sel:DWORD dst_unused:UNUSED_PAD src0_sel:WORD_1 src1_sel:DWORD
	v_fma_f16 v6, v37, v12, v6
	v_fma_f16 v5, v37, v5, -v7
	v_pack_b32_f16 v5, v6, v5
	ds_write_b32 v31, v5 offset:200
	s_waitcnt vmcnt(6)
	v_lshrrev_b32_e32 v5, 16, v14
	v_mul_f16_sdwa v6, v35, v5 dst_sel:DWORD dst_unused:UNUSED_PAD src0_sel:WORD_1 src1_sel:DWORD
	v_mul_f16_sdwa v7, v35, v14 dst_sel:DWORD dst_unused:UNUSED_PAD src0_sel:WORD_1 src1_sel:DWORD
	v_fma_f16 v6, v35, v14, v6
	v_fma_f16 v5, v35, v5, -v7
	v_pack_b32_f16 v5, v6, v5
	ds_write2_b32 v31, v1, v5 offset0:100 offset1:125
	s_waitcnt vmcnt(5)
	v_lshrrev_b32_e32 v1, 16, v15
	s_waitcnt vmcnt(2)
	v_mul_f16_sdwa v5, v36, v1 dst_sel:DWORD dst_unused:UNUSED_PAD src0_sel:WORD_1 src1_sel:DWORD
	v_mul_f16_sdwa v6, v36, v15 dst_sel:DWORD dst_unused:UNUSED_PAD src0_sel:WORD_1 src1_sel:DWORD
	v_fma_f16 v5, v36, v15, v5
	v_fma_f16 v1, v36, v1, -v6
	v_pack_b32_f16 v1, v5, v1
	ds_write2_b32 v31, v2, v1 offset0:175 offset1:200
	s_waitcnt vmcnt(1)
	v_lshrrev_b32_e32 v1, 16, v16
	v_mul_f16_sdwa v2, v33, v1 dst_sel:DWORD dst_unused:UNUSED_PAD src0_sel:WORD_1 src1_sel:DWORD
	v_mul_f16_sdwa v5, v33, v16 dst_sel:DWORD dst_unused:UNUSED_PAD src0_sel:WORD_1 src1_sel:DWORD
	v_fma_f16 v2, v33, v16, v2
	v_fma_f16 v1, v33, v1, -v5
	v_pack_b32_f16 v1, v2, v1
	ds_write2_b32 v43, v3, v1 offset0:122 offset1:147
	s_waitcnt vmcnt(0)
	v_lshrrev_b32_e32 v1, 16, v0
	v_mul_f16_sdwa v2, v32, v1 dst_sel:DWORD dst_unused:UNUSED_PAD src0_sel:WORD_1 src1_sel:DWORD
	v_fma_f16 v2, v32, v0, v2
	v_mul_f16_sdwa v0, v32, v0 dst_sel:DWORD dst_unused:UNUSED_PAD src0_sel:WORD_1 src1_sel:DWORD
	v_fma_f16 v0, v32, v1, -v0
	v_pack_b32_f16 v0, v2, v0
	ds_write2_b32 v49, v4, v0 offset0:69 offset1:94
	v_mul_lo_u16_e32 v0, 5, v48
	s_waitcnt lgkmcnt(0)
	s_barrier
	v_lshl_add_u32 v54, v0, 2, v21
	ds_read2_b32 v[0:1], v31 offset1:25
	ds_read2_b32 v[2:3], v31 offset0:100 offset1:125
	ds_read2_b32 v[4:5], v31 offset0:150 offset1:175
	;; [unrolled: 1-line block ×4, first 2 shown]
	s_mov_b32 s16, 0xbb9c
	s_waitcnt lgkmcnt(3)
	v_pk_add_f16 v10, v1, v2
	s_waitcnt lgkmcnt(2)
	v_pk_add_f16 v16, v2, v5 neg_lo:[0,1] neg_hi:[0,1]
	s_waitcnt lgkmcnt(1)
	v_pk_add_f16 v11, v5, v6
	s_waitcnt lgkmcnt(0)
	v_pk_add_f16 v12, v2, v9 neg_lo:[0,1] neg_hi:[0,1]
	v_pk_fma_f16 v11, v11, 0.5, v1 op_sel_hi:[1,0,1] neg_lo:[1,0,0] neg_hi:[1,0,0]
	v_pk_mul_f16 v13, v12, s12 op_sel_hi:[1,0]
	v_pk_add_f16 v14, v5, v6 neg_lo:[0,1] neg_hi:[0,1]
	v_pk_add_f16 v17, v9, v6 neg_lo:[0,1] neg_hi:[0,1]
	v_pk_mul_f16 v15, v14, s13 op_sel_hi:[1,0]
	v_pk_add_f16 v16, v16, v17
	v_pk_add_f16 v17, v11, v13 op_sel:[0,1] op_sel_hi:[1,0]
	v_pk_add_f16 v10, v10, v5
	v_pk_add_f16 v11, v11, v13 op_sel:[0,1] op_sel_hi:[1,0] neg_lo:[0,1] neg_hi:[0,1]
	v_pk_add_f16 v13, v17, v15 op_sel:[0,1] op_sel_hi:[1,0]
	v_pk_add_f16 v17, v2, v9
	v_pk_add_f16 v2, v5, v2 neg_lo:[0,1] neg_hi:[0,1]
	v_pk_add_f16 v5, v6, v9 neg_lo:[0,1] neg_hi:[0,1]
	v_pk_add_f16 v10, v10, v6
	v_pk_fma_f16 v1, v17, 0.5, v1 op_sel_hi:[1,0,1] neg_lo:[1,0,0] neg_hi:[1,0,0]
	v_pk_add_f16 v2, v2, v5
	v_pk_mul_f16 v5, v14, s12 op_sel_hi:[1,0]
	v_pk_add_f16 v10, v10, v9
	v_pk_mul_f16 v6, v12, s13 op_sel_hi:[1,0]
	v_pk_add_f16 v9, v1, v5 op_sel:[0,1] op_sel_hi:[1,0] neg_lo:[0,1] neg_hi:[0,1]
	v_pk_add_f16 v1, v1, v5 op_sel:[0,1] op_sel_hi:[1,0]
	v_pk_add_f16 v5, v9, v6 op_sel:[0,1] op_sel_hi:[1,0]
	v_pk_add_f16 v1, v1, v6 op_sel:[0,1] op_sel_hi:[1,0] neg_lo:[0,1] neg_hi:[0,1]
	v_pk_add_f16 v11, v11, v15 op_sel:[0,1] op_sel_hi:[1,0] neg_lo:[0,1] neg_hi:[0,1]
	v_bfi_b32 v6, s17, v5, v1
	v_bfi_b32 v1, s17, v1, v5
	v_pk_fma_f16 v12, v2, s14, v1 op_sel_hi:[1,0,1]
	v_bfi_b32 v1, s17, v11, v13
	v_bfi_b32 v15, s17, v13, v11
	v_pk_fma_f16 v9, v2, s14, v6 op_sel_hi:[1,0,1]
	v_pk_fma_f16 v11, v16, s14, v1 op_sel_hi:[1,0,1]
	ds_read2_b32 v[1:2], v31 offset0:50 offset1:75
	ds_read2_b32 v[5:6], v31 offset0:200 offset1:225
	v_pk_fma_f16 v15, v16, s14, v15 op_sel_hi:[1,0,1]
	ds_read_b32 v14, v31 offset:1400
	s_waitcnt lgkmcnt(0)
	v_pk_add_f16 v18, v2, v8 neg_lo:[0,1] neg_hi:[0,1]
	v_pk_add_f16 v17, v4, v6
	v_pk_fma_f16 v17, v17, 0.5, v0 op_sel_hi:[1,0,1] neg_lo:[1,0,0] neg_hi:[1,0,0]
	v_pk_mul_f16 v19, v18, s12 op_sel_hi:[1,0]
	v_pk_add_f16 v23, v4, v6 neg_lo:[0,1] neg_hi:[0,1]
	v_pk_add_f16 v26, v2, v4 neg_lo:[0,1] neg_hi:[0,1]
	;; [unrolled: 1-line block ×3, first 2 shown]
	v_pk_add_f16 v16, v0, v2
	v_pk_mul_f16 v24, v23, s13 op_sel_hi:[1,0]
	v_pk_add_f16 v26, v26, v27
	v_pk_add_f16 v27, v17, v19 op_sel:[0,1] op_sel_hi:[1,0]
	v_pk_add_f16 v17, v17, v19 op_sel:[0,1] op_sel_hi:[1,0] neg_lo:[0,1] neg_hi:[0,1]
	v_pk_add_f16 v16, v16, v4
	v_pk_add_f16 v19, v27, v24 op_sel:[0,1] op_sel_hi:[1,0]
	v_pk_add_f16 v17, v17, v24 op_sel:[0,1] op_sel_hi:[1,0] neg_lo:[0,1] neg_hi:[0,1]
	v_pk_add_f16 v16, v16, v6
	v_bfi_b32 v24, s17, v19, v17
	v_pk_add_f16 v16, v16, v8
	v_pk_fma_f16 v24, v26, s14, v24 op_sel_hi:[1,0,1]
	s_barrier
	ds_write2_b32 v54, v16, v24 offset1:1
	v_pk_add_f16 v16, v2, v8
	v_pk_add_f16 v2, v4, v2 neg_lo:[0,1] neg_hi:[0,1]
	v_pk_add_f16 v4, v6, v8 neg_lo:[0,1] neg_hi:[0,1]
	v_pk_fma_f16 v0, v16, 0.5, v0 op_sel_hi:[1,0,1] neg_lo:[1,0,0] neg_hi:[1,0,0]
	v_pk_add_f16 v2, v2, v4
	v_pk_mul_f16 v4, v23, s12 op_sel_hi:[1,0]
	v_pk_mul_f16 v6, v18, s13 op_sel_hi:[1,0]
	v_pk_add_f16 v8, v0, v4 op_sel:[0,1] op_sel_hi:[1,0] neg_lo:[0,1] neg_hi:[0,1]
	v_pk_add_f16 v0, v0, v4 op_sel:[0,1] op_sel_hi:[1,0]
	v_pk_add_f16 v4, v8, v6 op_sel:[0,1] op_sel_hi:[1,0]
	v_pk_add_f16 v0, v0, v6 op_sel:[0,1] op_sel_hi:[1,0] neg_lo:[0,1] neg_hi:[0,1]
	v_bfi_b32 v6, s17, v4, v0
	v_bfi_b32 v0, s17, v0, v4
	v_pk_fma_f16 v6, v2, s14, v6 op_sel_hi:[1,0,1]
	v_pk_fma_f16 v0, v2, s14, v0 op_sel_hi:[1,0,1]
	ds_write2_b32 v54, v6, v0 offset0:2 offset1:3
	v_bfi_b32 v0, s17, v17, v19
	v_pk_fma_f16 v0, v26, s14, v0 op_sel_hi:[1,0,1]
	ds_write_b32 v54, v0 offset:16
	ds_write2_b32 v53, v10, v15 offset1:1
	ds_write2_b32 v53, v9, v12 offset0:2 offset1:3
	ds_write_b32 v53, v11 offset:16
	v_pk_add_f16 v0, v5, v7
	v_pk_add_f16 v2, v3, v14 neg_lo:[0,1] neg_hi:[0,1]
	v_pk_fma_f16 v0, v0, 0.5, v1 op_sel_hi:[1,0,1] neg_lo:[1,0,0] neg_hi:[1,0,0]
	v_pk_mul_f16 v4, v2, s12 op_sel_hi:[1,0]
	v_pk_add_f16 v6, v5, v7 neg_lo:[0,1] neg_hi:[0,1]
	v_pk_add_f16 v9, v3, v5 neg_lo:[0,1] neg_hi:[0,1]
	;; [unrolled: 1-line block ×3, first 2 shown]
	v_mul_u32_u24_e32 v13, 5, v25
	v_pk_mul_f16 v8, v6, s13 op_sel_hi:[1,0]
	v_pk_add_f16 v9, v9, v10
	v_pk_add_f16 v10, v0, v4 op_sel:[0,1] op_sel_hi:[1,0]
	v_pk_add_f16 v0, v0, v4 op_sel:[0,1] op_sel_hi:[1,0] neg_lo:[0,1] neg_hi:[0,1]
	v_lshl_add_u32 v52, v13, 2, v21
	v_pk_add_f16 v13, v1, v3
	v_pk_add_f16 v4, v10, v8 op_sel:[0,1] op_sel_hi:[1,0]
	v_pk_add_f16 v0, v0, v8 op_sel:[0,1] op_sel_hi:[1,0] neg_lo:[0,1] neg_hi:[0,1]
	v_pk_add_f16 v13, v13, v5
	v_bfi_b32 v8, s17, v4, v0
	v_bfi_b32 v0, s17, v0, v4
	v_pk_add_f16 v13, v13, v7
	v_pk_fma_f16 v0, v9, s14, v0 op_sel_hi:[1,0,1]
	v_pk_add_f16 v13, v13, v14
	v_pk_fma_f16 v8, v9, s14, v8 op_sel_hi:[1,0,1]
	ds_write_b32 v52, v0 offset:16
	v_mul_lo_u16_sdwa v0, v48, s18 dst_sel:DWORD dst_unused:UNUSED_PAD src0_sel:BYTE_0 src1_sel:DWORD
	ds_write2_b32 v52, v13, v8 offset1:1
	v_pk_add_f16 v8, v3, v14
	v_pk_add_f16 v3, v5, v3 neg_lo:[0,1] neg_hi:[0,1]
	v_pk_add_f16 v5, v7, v14 neg_lo:[0,1] neg_hi:[0,1]
	v_lshrrev_b16_e32 v12, 10, v0
	v_pk_fma_f16 v1, v8, 0.5, v1 op_sel_hi:[1,0,1] neg_lo:[1,0,0] neg_hi:[1,0,0]
	v_pk_add_f16 v3, v3, v5
	v_pk_mul_f16 v5, v6, s12 op_sel_hi:[1,0]
	v_mul_lo_u16_e32 v0, 5, v12
	v_pk_mul_f16 v2, v2, s13 op_sel_hi:[1,0]
	v_pk_add_f16 v6, v1, v5 op_sel:[0,1] op_sel_hi:[1,0] neg_lo:[0,1] neg_hi:[0,1]
	v_pk_add_f16 v1, v1, v5 op_sel:[0,1] op_sel_hi:[1,0]
	v_sub_u16_e32 v13, v48, v0
	v_pk_add_f16 v5, v6, v2 op_sel:[0,1] op_sel_hi:[1,0]
	v_pk_add_f16 v1, v1, v2 op_sel:[0,1] op_sel_hi:[1,0] neg_lo:[0,1] neg_hi:[0,1]
	v_lshlrev_b16_e32 v0, 2, v13
	v_bfi_b32 v2, s17, v5, v1
	v_bfi_b32 v1, s17, v1, v5
	v_and_b32_e32 v0, 0xfc, v0
	v_pk_fma_f16 v2, v3, s14, v2 op_sel_hi:[1,0,1]
	v_pk_fma_f16 v1, v3, s14, v1 op_sel_hi:[1,0,1]
	v_lshlrev_b32_e32 v0, 2, v0
	ds_write2_b32 v52, v2, v1 offset0:2 offset1:3
	s_waitcnt lgkmcnt(0)
	s_barrier
	global_load_dwordx4 v[0:3], v0, s[2:3]
	ds_read2_b32 v[4:5], v31 offset0:50 offset1:75
	ds_read2_b32 v[6:7], v31 offset0:150 offset1:175
	;; [unrolled: 1-line block ×4, first 2 shown]
	v_mul_lo_u16_sdwa v8, v22, s18 dst_sel:DWORD dst_unused:UNUSED_PAD src0_sel:BYTE_0 src1_sel:DWORD
	s_waitcnt lgkmcnt(3)
	v_lshrrev_b32_e32 v14, 16, v5
	s_waitcnt lgkmcnt(2)
	v_lshrrev_b32_e32 v15, 16, v6
	;; [unrolled: 2-line block ×4, first 2 shown]
	v_lshrrev_b16_e32 v26, 10, v8
	v_mul_lo_u16_e32 v8, 5, v26
	v_sub_u16_e32 v27, v22, v8
	v_lshlrev_b32_sdwa v8, v28, v27 dst_sel:DWORD dst_unused:UNUSED_PAD src0_sel:DWORD src1_sel:BYTE_0
	global_load_dwordx4 v[8:11], v8, s[2:3]
	v_mad_legacy_u16 v56, v12, 25, v13
	s_mov_b32 s15, 0xb8b4
	v_and_b32_e32 v56, 0xff, v56
	v_lshl_add_u32 v56, v56, 2, v21
	s_waitcnt vmcnt(1)
	v_mul_f16_sdwa v29, v14, v0 dst_sel:DWORD dst_unused:UNUSED_PAD src0_sel:DWORD src1_sel:WORD_1
	v_fma_f16 v29, v5, v0, -v29
	v_mul_f16_sdwa v5, v5, v0 dst_sel:DWORD dst_unused:UNUSED_PAD src0_sel:DWORD src1_sel:WORD_1
	v_fma_f16 v30, v14, v0, v5
	v_mul_f16_sdwa v5, v15, v1 dst_sel:DWORD dst_unused:UNUSED_PAD src0_sel:DWORD src1_sel:WORD_1
	v_fma_f16 v55, v6, v1, -v5
	v_mul_f16_sdwa v5, v6, v1 dst_sel:DWORD dst_unused:UNUSED_PAD src0_sel:DWORD src1_sel:WORD_1
	v_fma_f16 v57, v15, v1, v5
	;; [unrolled: 4-line block ×4, first 2 shown]
	v_sub_f16_e32 v5, v29, v55
	v_sub_f16_e32 v6, v60, v58
	v_add_f16_e32 v62, v5, v6
	ds_read2_b32 v[5:6], v31 offset1:25
	v_sub_f16_e32 v67, v30, v61
	v_sub_f16_e32 v70, v29, v60
	;; [unrolled: 1-line block ×4, first 2 shown]
	s_waitcnt lgkmcnt(0)
	v_lshrrev_b32_e32 v64, 16, v5
	v_add_f16_e32 v12, v5, v29
	v_add_f16_e32 v13, v64, v30
	;; [unrolled: 1-line block ×8, first 2 shown]
	v_pack_b32_f16 v65, v12, v13
	v_add_f16_e32 v12, v55, v58
	v_add_f16_e32 v13, v57, v59
	v_fma_f16 v66, v12, -0.5, v5
	v_fma_f16 v69, v13, -0.5, v64
	v_fma_f16 v12, v67, s12, v66
	v_sub_f16_e32 v68, v57, v59
	v_fma_f16 v13, v70, s16, v69
	v_sub_f16_e32 v71, v55, v58
	v_add_f16_e32 v63, v14, v15
	v_fma_f16 v12, v68, s13, v12
	v_fma_f16 v13, v71, s15, v13
	;; [unrolled: 1-line block ×4, first 2 shown]
	v_pack_b32_f16 v72, v12, v13
	v_mul_lo_u16_sdwa v12, v25, s18 dst_sel:DWORD dst_unused:UNUSED_PAD src0_sel:BYTE_0 src1_sel:DWORD
	v_lshrrev_b16_e32 v73, 10, v12
	v_mul_lo_u16_e32 v12, 5, v73
	v_sub_u16_e32 v74, v25, v12
	v_lshlrev_b32_sdwa v12, v28, v74 dst_sel:DWORD dst_unused:UNUSED_PAD src0_sel:DWORD src1_sel:BYTE_0
	ds_read_b32 v28, v31 offset:1400
	ds_read2_b32 v[17:18], v31 offset0:100 offset1:125
	ds_read2_b32 v[23:24], v43 offset0:122 offset1:147
	global_load_dwordx4 v[12:15], v12, s[2:3]
	v_sub_f16_e32 v55, v55, v29
	v_add_f16_e32 v29, v29, v60
	v_fma_f16 v5, v29, -0.5, v5
	v_sub_f16_e32 v58, v58, v60
	v_fma_f16 v29, v68, s16, v5
	v_fma_f16 v5, v68, s12, v5
	v_add_f16_e32 v55, v55, v58
	v_fma_f16 v29, v67, s13, v29
	v_fma_f16 v5, v67, s15, v5
	;; [unrolled: 1-line block ×4, first 2 shown]
	v_add_f16_e32 v55, v30, v61
	v_fma_f16 v55, v55, -0.5, v64
	v_sub_f16_e32 v30, v57, v30
	v_sub_f16_e32 v57, v59, v61
	v_add_f16_e32 v30, v30, v57
	v_fma_f16 v57, v71, s12, v55
	v_fma_f16 v55, v71, s16, v55
	;; [unrolled: 1-line block ×6, first 2 shown]
	v_pack_b32_f16 v29, v29, v57
	v_pack_b32_f16 v5, v5, v30
	s_waitcnt vmcnt(0) lgkmcnt(0)
	s_barrier
	ds_write2_b32 v56, v29, v5 offset0:10 offset1:15
	v_lshrrev_b32_e32 v5, 16, v7
	v_mul_f16_sdwa v29, v5, v9 dst_sel:DWORD dst_unused:UNUSED_PAD src0_sel:DWORD src1_sel:WORD_1
	v_fma_f16 v29, v7, v9, -v29
	v_mul_f16_sdwa v7, v7, v9 dst_sel:DWORD dst_unused:UNUSED_PAD src0_sel:DWORD src1_sel:WORD_1
	v_fma_f16 v5, v5, v9, v7
	v_lshrrev_b32_e32 v7, 16, v19
	v_mul_f16_sdwa v30, v7, v11 dst_sel:DWORD dst_unused:UNUSED_PAD src0_sel:DWORD src1_sel:WORD_1
	v_lshrrev_b32_e32 v57, 16, v17
	v_mul_f16_sdwa v58, v17, v8 dst_sel:DWORD dst_unused:UNUSED_PAD src0_sel:DWORD src1_sel:WORD_1
	v_fma_f16 v30, v19, v11, -v30
	v_mul_f16_sdwa v19, v19, v11 dst_sel:DWORD dst_unused:UNUSED_PAD src0_sel:DWORD src1_sel:WORD_1
	v_fma_f16 v58, v57, v8, v58
	v_mul_f16_sdwa v57, v57, v8 dst_sel:DWORD dst_unused:UNUSED_PAD src0_sel:DWORD src1_sel:WORD_1
	v_fma_f16 v7, v7, v11, v19
	v_fma_f16 v19, v67, s16, v66
	;; [unrolled: 1-line block ×3, first 2 shown]
	v_fma_f16 v17, v17, v8, -v57
	v_lshrrev_b32_e32 v57, 16, v23
	v_mul_f16_sdwa v59, v23, v10 dst_sel:DWORD dst_unused:UNUSED_PAD src0_sel:DWORD src1_sel:WORD_1
	v_fma_f16 v19, v68, s15, v19
	v_fma_f16 v55, v71, s13, v55
	;; [unrolled: 1-line block ×3, first 2 shown]
	v_mul_f16_sdwa v57, v57, v10 dst_sel:DWORD dst_unused:UNUSED_PAD src0_sel:DWORD src1_sel:WORD_1
	v_fma_f16 v19, v62, s14, v19
	v_fma_f16 v55, v63, s14, v55
	v_fma_f16 v23, v23, v10, -v57
	v_add_f16_e32 v57, v29, v23
	v_add_f16_e32 v60, v17, v30
	v_lshrrev_b32_e32 v61, 16, v6
	v_pack_b32_f16 v19, v19, v55
	v_fma_f16 v57, v57, -0.5, v6
	v_fma_f16 v60, v60, -0.5, v6
	v_add_f16_e32 v6, v6, v17
	ds_write_b32 v56, v19 offset:80
	v_mul_u32_u24_e32 v19, 25, v26
	v_add_f16_e32 v26, v61, v58
	v_add_f16_e32 v6, v6, v29
	v_add_f16_e32 v26, v26, v5
	v_add_f16_e32 v6, v6, v23
	v_add_f16_e32 v26, v26, v59
	v_sub_f16_e32 v62, v17, v29
	v_sub_f16_e32 v63, v30, v23
	v_add_f16_e32 v6, v6, v30
	v_add_f16_e32 v26, v26, v7
	;; [unrolled: 1-line block ×3, first 2 shown]
	ds_write2_b32 v56, v65, v72 offset1:5
	v_add_f16_e32 v62, v62, v63
	v_sub_f16_e32 v63, v58, v5
	v_sub_f16_e32 v64, v7, v59
	v_pack_b32_f16 v6, v6, v26
	v_sub_f16_e32 v26, v58, v7
	v_fma_f16 v65, v55, -0.5, v61
	v_sub_f16_e32 v66, v17, v30
	v_add_f16_e32 v63, v63, v64
	v_add_u32_sdwa v19, v19, v27 dst_sel:DWORD dst_unused:UNUSED_PAD src0_sel:DWORD src1_sel:BYTE_0
	v_fma_f16 v27, v26, s12, v57
	v_sub_f16_e32 v64, v5, v59
	v_fma_f16 v55, v66, s16, v65
	v_sub_f16_e32 v67, v29, v23
	v_fma_f16 v27, v64, s13, v27
	v_fma_f16 v55, v67, s15, v55
	;; [unrolled: 1-line block ×4, first 2 shown]
	v_pack_b32_f16 v27, v27, v55
	v_lshl_add_u32 v55, v19, 2, v21
	ds_write2_b32 v55, v6, v27 offset1:5
	v_lshrrev_b32_e32 v6, 16, v18
	v_mul_f16_sdwa v19, v6, v12 dst_sel:DWORD dst_unused:UNUSED_PAD src0_sel:DWORD src1_sel:WORD_1
	v_fma_f16 v19, v18, v12, -v19
	v_mul_f16_sdwa v18, v18, v12 dst_sel:DWORD dst_unused:UNUSED_PAD src0_sel:DWORD src1_sel:WORD_1
	v_fma_f16 v6, v6, v12, v18
	v_lshrrev_b32_e32 v18, 16, v16
	v_mul_f16_sdwa v27, v18, v13 dst_sel:DWORD dst_unused:UNUSED_PAD src0_sel:DWORD src1_sel:WORD_1
	v_fma_f16 v27, v16, v13, -v27
	v_mul_f16_sdwa v16, v16, v13 dst_sel:DWORD dst_unused:UNUSED_PAD src0_sel:DWORD src1_sel:WORD_1
	v_fma_f16 v16, v18, v13, v16
	;; [unrolled: 5-line block ×3, first 2 shown]
	v_lshrrev_b32_e32 v24, 16, v28
	v_mul_f16_sdwa v69, v24, v15 dst_sel:DWORD dst_unused:UNUSED_PAD src0_sel:DWORD src1_sel:WORD_1
	v_sub_f16_e32 v17, v29, v17
	v_sub_f16_e32 v23, v23, v30
	v_fma_f16 v69, v28, v15, -v69
	v_mul_f16_sdwa v28, v28, v15 dst_sel:DWORD dst_unused:UNUSED_PAD src0_sel:DWORD src1_sel:WORD_1
	v_add_f16_e32 v17, v17, v23
	v_fma_f16 v23, v64, s16, v60
	v_fma_f16 v29, v64, s12, v60
	;; [unrolled: 1-line block ×6, first 2 shown]
	v_add_f16_e32 v29, v58, v7
	v_fma_f16 v29, v29, -0.5, v61
	v_sub_f16_e32 v5, v5, v58
	v_sub_f16_e32 v7, v59, v7
	v_add_f16_e32 v5, v5, v7
	v_fma_f16 v7, v67, s12, v29
	v_fma_f16 v29, v67, s16, v29
	;; [unrolled: 1-line block ×6, first 2 shown]
	v_add_f16_e32 v29, v27, v68
	v_sub_f16_e32 v58, v19, v27
	v_sub_f16_e32 v59, v69, v68
	v_fma_f16 v29, v29, -0.5, v4
	v_add_f16_e32 v58, v58, v59
	v_sub_f16_e32 v59, v6, v24
	v_fma_f16 v60, v59, s12, v29
	v_sub_f16_e32 v61, v16, v18
	v_fma_f16 v29, v59, s16, v29
	v_fma_f16 v28, v64, s15, v28
	v_add_f16_e32 v30, v19, v69
	v_fma_f16 v60, v61, s13, v60
	v_fma_f16 v29, v61, s15, v29
	;; [unrolled: 1-line block ×3, first 2 shown]
	v_fma_f16 v30, v30, -0.5, v4
	v_fma_f16 v60, v58, s14, v60
	v_fma_f16 v29, v58, s14, v29
	v_sub_f16_e32 v58, v27, v19
	v_sub_f16_e32 v62, v68, v69
	v_add_f16_e32 v58, v58, v62
	v_fma_f16 v62, v61, s16, v30
	v_fma_f16 v30, v61, s12, v30
	;; [unrolled: 1-line block ×6, first 2 shown]
	v_sub_f16_e32 v58, v6, v16
	v_sub_f16_e32 v61, v24, v18
	v_lshrrev_b32_e32 v57, 16, v4
	v_add_f16_e32 v58, v58, v61
	v_add_f16_e32 v61, v16, v18
	;; [unrolled: 1-line block ×3, first 2 shown]
	v_sub_f16_e32 v19, v19, v69
	v_fma_f16 v61, v61, -0.5, v57
	v_add_f16_e32 v4, v4, v27
	v_sub_f16_e32 v27, v27, v68
	v_fma_f16 v62, v19, s16, v61
	v_fma_f16 v61, v19, s12, v61
	;; [unrolled: 1-line block ×9, first 2 shown]
	v_add_f16_e32 v61, v6, v24
	v_fma_f16 v26, v67, s13, v26
	v_fma_f16 v61, v61, -0.5, v57
	v_add_f16_e32 v57, v57, v6
	v_fma_f16 v26, v63, s14, v26
	v_add_f16_e32 v57, v57, v16
	v_pack_b32_f16 v7, v23, v7
	v_pack_b32_f16 v5, v17, v5
	v_sub_f16_e32 v6, v16, v6
	v_add_f16_e32 v16, v57, v18
	v_sub_f16_e32 v18, v18, v24
	ds_write2_b32 v55, v7, v5 offset0:10 offset1:15
	v_pack_b32_f16 v5, v28, v26
	v_add_f16_e32 v4, v4, v68
	v_add_f16_e32 v16, v16, v24
	;; [unrolled: 1-line block ×3, first 2 shown]
	v_fma_f16 v18, v27, s12, v61
	v_fma_f16 v24, v27, s16, v61
	ds_write_b32 v55, v5 offset:80
	v_mul_u32_u24_e32 v5, 25, v73
	v_add_f16_e32 v4, v4, v69
	v_fma_f16 v18, v19, s15, v18
	v_fma_f16 v19, v19, s13, v24
	v_add_u32_sdwa v5, v5, v74 dst_sel:DWORD dst_unused:UNUSED_PAD src0_sel:DWORD src1_sel:BYTE_0
	v_fma_f16 v18, v6, s14, v18
	v_fma_f16 v6, v6, s14, v19
	v_lshl_add_u32 v57, v5, 2, v21
	v_pack_b32_f16 v4, v4, v16
	v_pack_b32_f16 v5, v60, v62
	ds_write2_b32 v57, v4, v5 offset1:5
	v_pack_b32_f16 v4, v59, v18
	v_pack_b32_f16 v5, v30, v6
	ds_write2_b32 v57, v4, v5 offset0:10 offset1:15
	v_pack_b32_f16 v4, v29, v58
	ds_write_b32 v57, v4 offset:80
	v_lshlrev_b32_e32 v4, 4, v48
	s_waitcnt lgkmcnt(0)
	s_barrier
	global_load_dwordx4 v[4:7], v4, s[2:3] offset:80
	v_mov_b32_e32 v16, 41
	v_mul_lo_u16_sdwa v16, v25, v16 dst_sel:DWORD dst_unused:UNUSED_PAD src0_sel:BYTE_0 src1_sel:DWORD
	v_lshrrev_b16_e32 v16, 10, v16
	v_mul_lo_u16_e32 v16, 25, v16
	v_sub_u16_e32 v16, v25, v16
	v_and_b32_e32 v64, 0xff, v16
	v_lshlrev_b32_e32 v16, 4, v64
	ds_read2_b32 v[23:24], v31 offset0:50 offset1:75
	ds_read2_b32 v[26:27], v31 offset0:150 offset1:175
	global_load_dwordx4 v[16:19], v16, s[2:3] offset:80
	v_lshlrev_b32_e32 v25, 3, v25
	s_movk_i32 s18, 0x3aee
	s_waitcnt lgkmcnt(1)
	v_lshrrev_b32_e32 v28, 16, v24
	s_waitcnt lgkmcnt(0)
	v_lshrrev_b32_e32 v30, 16, v26
	s_waitcnt vmcnt(1)
	v_mul_f16_sdwa v29, v24, v4 dst_sel:DWORD dst_unused:UNUSED_PAD src0_sel:DWORD src1_sel:WORD_1
	v_fma_f16 v65, v28, v4, v29
	v_mul_f16_sdwa v28, v28, v4 dst_sel:DWORD dst_unused:UNUSED_PAD src0_sel:DWORD src1_sel:WORD_1
	v_fma_f16 v24, v24, v4, -v28
	ds_read2_b32 v[28:29], v31 offset0:200 offset1:225
	v_mul_f16_sdwa v58, v26, v5 dst_sel:DWORD dst_unused:UNUSED_PAD src0_sel:DWORD src1_sel:WORD_1
	v_fma_f16 v66, v30, v5, v58
	ds_read2_b32 v[58:59], v49 offset0:44 offset1:69
	v_mul_f16_sdwa v30, v30, v5 dst_sel:DWORD dst_unused:UNUSED_PAD src0_sel:DWORD src1_sel:WORD_1
	v_fma_f16 v26, v26, v5, -v30
	s_waitcnt lgkmcnt(1)
	v_lshrrev_b32_e32 v30, 16, v29
	v_mul_f16_sdwa v60, v29, v6 dst_sel:DWORD dst_unused:UNUSED_PAD src0_sel:DWORD src1_sel:WORD_1
	v_fma_f16 v67, v30, v6, v60
	v_mul_f16_sdwa v30, v30, v6 dst_sel:DWORD dst_unused:UNUSED_PAD src0_sel:DWORD src1_sel:WORD_1
	v_fma_f16 v68, v29, v6, -v30
	s_waitcnt lgkmcnt(0)
	v_lshrrev_b32_e32 v29, 16, v58
	v_mul_f16_sdwa v30, v58, v7 dst_sel:DWORD dst_unused:UNUSED_PAD src0_sel:DWORD src1_sel:WORD_1
	v_fma_f16 v69, v29, v7, v30
	v_mul_f16_sdwa v29, v29, v7 dst_sel:DWORD dst_unused:UNUSED_PAD src0_sel:DWORD src1_sel:WORD_1
	v_fma_f16 v58, v58, v7, -v29
	ds_read2_b32 v[29:30], v31 offset1:25
	v_sub_f16_e32 v60, v24, v26
	v_sub_f16_e32 v61, v58, v68
	v_add_f16_e32 v70, v60, v61
	v_sub_f16_e32 v60, v65, v66
	v_sub_f16_e32 v61, v69, v67
	s_waitcnt lgkmcnt(0)
	v_lshrrev_b32_e32 v72, 16, v29
	v_add_f16_e32 v71, v60, v61
	v_add_f16_e32 v60, v29, v24
	;; [unrolled: 1-line block ×9, first 2 shown]
	v_pack_b32_f16 v73, v60, v61
	v_add_f16_e32 v60, v26, v68
	v_sub_f16_e32 v78, v24, v58
	v_sub_f16_e32 v79, v26, v68
	;; [unrolled: 1-line block ×3, first 2 shown]
	v_add_f16_e32 v24, v24, v58
	v_sub_f16_e32 v76, v66, v67
	v_fma_f16 v24, v24, -0.5, v29
	v_fma_f16 v74, v60, -0.5, v29
	v_sub_f16_e32 v75, v65, v69
	v_sub_f16_e32 v58, v68, v58
	v_fma_f16 v29, v76, s16, v24
	v_fma_f16 v24, v76, s12, v24
	v_add_f16_e32 v61, v66, v67
	v_add_f16_e32 v26, v26, v58
	v_fma_f16 v29, v75, s13, v29
	v_fma_f16 v24, v75, s15, v24
	v_fma_f16 v77, v61, -0.5, v72
	v_fma_f16 v29, v26, s14, v29
	v_fma_f16 v24, v26, s14, v24
	v_add_f16_e32 v26, v65, v69
	v_fma_f16 v60, v75, s12, v74
	v_fma_f16 v61, v78, s16, v77
	v_fma_f16 v26, v26, -0.5, v72
	v_sub_f16_e32 v58, v66, v65
	v_sub_f16_e32 v65, v67, v69
	v_fma_f16 v60, v76, s13, v60
	v_fma_f16 v61, v79, s15, v61
	v_add_f16_e32 v58, v58, v65
	v_fma_f16 v65, v79, s12, v26
	v_fma_f16 v26, v79, s16, v26
	v_fma_f16 v60, v70, s14, v60
	v_fma_f16 v61, v71, s14, v61
	v_fma_f16 v65, v78, s15, v65
	v_fma_f16 v26, v78, s13, v26
	v_pack_b32_f16 v80, v60, v61
	ds_read_b32 v81, v31 offset:1400
	ds_read2_b32 v[60:61], v31 offset0:100 offset1:125
	ds_read2_b32 v[62:63], v43 offset0:122 offset1:147
	v_fma_f16 v65, v58, s14, v65
	v_fma_f16 v26, v58, s14, v26
	v_pack_b32_f16 v29, v29, v65
	v_pack_b32_f16 v24, v24, v26
	s_waitcnt vmcnt(0) lgkmcnt(0)
	s_barrier
	ds_write2_b32 v31, v29, v24 offset0:50 offset1:75
	v_lshrrev_b32_e32 v24, 16, v27
	v_mul_f16_sdwa v26, v24, v5 dst_sel:DWORD dst_unused:UNUSED_PAD src0_sel:DWORD src1_sel:WORD_1
	v_fma_f16 v26, v27, v5, -v26
	v_mul_f16_sdwa v27, v27, v5 dst_sel:DWORD dst_unused:UNUSED_PAD src0_sel:DWORD src1_sel:WORD_1
	v_lshrrev_b32_e32 v65, 16, v60
	v_mul_f16_sdwa v66, v60, v4 dst_sel:DWORD dst_unused:UNUSED_PAD src0_sel:DWORD src1_sel:WORD_1
	v_fma_f16 v24, v24, v5, v27
	v_lshrrev_b32_e32 v27, 16, v59
	v_fma_f16 v66, v65, v4, v66
	v_mul_f16_sdwa v65, v65, v4 dst_sel:DWORD dst_unused:UNUSED_PAD src0_sel:DWORD src1_sel:WORD_1
	v_mul_f16_sdwa v29, v27, v7 dst_sel:DWORD dst_unused:UNUSED_PAD src0_sel:DWORD src1_sel:WORD_1
	;; [unrolled: 1-line block ×3, first 2 shown]
	v_fma_f16 v60, v60, v4, -v65
	v_lshrrev_b32_e32 v65, 16, v62
	v_mul_f16_sdwa v67, v62, v6 dst_sel:DWORD dst_unused:UNUSED_PAD src0_sel:DWORD src1_sel:WORD_1
	v_fma_f16 v29, v59, v7, -v29
	v_fma_f16 v27, v27, v7, v58
	v_fma_f16 v58, v75, s16, v74
	;; [unrolled: 1-line block ×4, first 2 shown]
	v_mul_f16_sdwa v65, v65, v6 dst_sel:DWORD dst_unused:UNUSED_PAD src0_sel:DWORD src1_sel:WORD_1
	v_fma_f16 v58, v76, s15, v58
	v_fma_f16 v59, v79, s13, v59
	v_fma_f16 v62, v62, v6, -v65
	v_fma_f16 v58, v70, s14, v58
	v_fma_f16 v59, v71, s14, v59
	v_add_f16_e32 v65, v26, v62
	v_add_f16_e32 v68, v60, v29
	v_lshrrev_b32_e32 v69, 16, v30
	v_fma_f16 v65, v65, -0.5, v30
	v_fma_f16 v68, v68, -0.5, v30
	v_add_f16_e32 v30, v30, v60
	v_pack_b32_f16 v58, v58, v59
	v_add_f16_e32 v59, v69, v66
	v_add_f16_e32 v30, v30, v26
	;; [unrolled: 1-line block ×7, first 2 shown]
	v_pack_b32_f16 v30, v30, v59
	ds_write2_b32 v31, v58, v30 offset0:100 offset1:125
	v_sub_f16_e32 v30, v60, v26
	v_sub_f16_e32 v58, v29, v62
	v_add_f16_e32 v30, v30, v58
	v_sub_f16_e32 v58, v26, v60
	v_sub_f16_e32 v59, v62, v29
	v_add_f16_e32 v58, v58, v59
	v_sub_f16_e32 v29, v60, v29
	v_sub_f16_e32 v59, v66, v24
	;; [unrolled: 1-line block ×4, first 2 shown]
	v_add_f16_e32 v59, v59, v60
	v_add_f16_e32 v60, v24, v67
	;; [unrolled: 1-line block ×3, first 2 shown]
	v_fma_f16 v60, v60, -0.5, v69
	v_fma_f16 v62, v62, -0.5, v69
	v_sub_f16_e32 v69, v66, v27
	v_sub_f16_e32 v66, v24, v66
	;; [unrolled: 1-line block ×4, first 2 shown]
	v_add_f16_e32 v27, v66, v27
	v_fma_f16 v66, v69, s12, v65
	v_fma_f16 v67, v29, s16, v60
	;; [unrolled: 1-line block ×7, first 2 shown]
	v_pack_b32_f16 v66, v66, v67
	v_fma_f16 v67, v24, s16, v68
	v_fma_f16 v65, v24, s15, v65
	;; [unrolled: 1-line block ×16, first 2 shown]
	v_pack_b32_f16 v24, v24, v26
	v_pack_b32_f16 v26, v30, v58
	v_fma_f16 v70, v27, s14, v70
	ds_write2_b32 v31, v24, v26 offset0:200 offset1:225
	v_lshrrev_b32_e32 v24, 16, v61
	v_mul_f16_sdwa v27, v61, v16 dst_sel:DWORD dst_unused:UNUSED_PAD src0_sel:DWORD src1_sel:WORD_1
	v_mul_f16_sdwa v26, v24, v16 dst_sel:DWORD dst_unused:UNUSED_PAD src0_sel:DWORD src1_sel:WORD_1
	v_fma_f16 v24, v24, v16, v27
	v_lshrrev_b32_e32 v27, 16, v28
	v_mul_f16_sdwa v29, v27, v17 dst_sel:DWORD dst_unused:UNUSED_PAD src0_sel:DWORD src1_sel:WORD_1
	v_fma_f16 v29, v28, v17, -v29
	v_mul_f16_sdwa v28, v28, v17 dst_sel:DWORD dst_unused:UNUSED_PAD src0_sel:DWORD src1_sel:WORD_1
	v_fma_f16 v27, v27, v17, v28
	v_lshrrev_b32_e32 v28, 16, v63
	v_mul_f16_sdwa v58, v63, v18 dst_sel:DWORD dst_unused:UNUSED_PAD src0_sel:DWORD src1_sel:WORD_1
	v_mul_f16_sdwa v30, v28, v18 dst_sel:DWORD dst_unused:UNUSED_PAD src0_sel:DWORD src1_sel:WORD_1
	v_fma_f16 v28, v28, v18, v58
	v_lshrrev_b32_e32 v58, 16, v81
	v_mul_f16_sdwa v59, v58, v19 dst_sel:DWORD dst_unused:UNUSED_PAD src0_sel:DWORD src1_sel:WORD_1
	v_fma_f16 v30, v63, v18, -v30
	v_fma_f16 v60, v81, v19, -v59
	v_mul_f16_sdwa v59, v81, v19 dst_sel:DWORD dst_unused:UNUSED_PAD src0_sel:DWORD src1_sel:WORD_1
	v_fma_f16 v26, v61, v16, -v26
	v_fma_f16 v61, v58, v19, v59
	v_add_f16_e32 v58, v29, v30
	v_fma_f16 v62, v58, -0.5, v23
	v_add_f16_e32 v58, v26, v60
	v_pack_b32_f16 v67, v67, v70
	v_fma_f16 v63, v58, -0.5, v23
	v_sub_f16_e32 v58, v26, v29
	v_sub_f16_e32 v59, v60, v30
	ds_write2_b32 v31, v66, v67 offset0:150 offset1:175
	v_lshrrev_b32_e32 v65, 16, v23
	v_add_f16_e32 v23, v23, v26
	v_add_f16_e32 v66, v58, v59
	v_sub_f16_e32 v58, v24, v27
	v_sub_f16_e32 v59, v61, v28
	v_add_f16_e32 v67, v58, v59
	v_lshl_add_u32 v58, v64, 2, v21
	v_add_f16_e32 v21, v23, v29
	v_add_f16_e32 v23, v65, v24
	;; [unrolled: 1-line block ×8, first 2 shown]
	v_pack_b32_f16 v21, v21, v23
	v_sub_f16_e32 v23, v24, v61
	v_fma_f16 v68, v68, -0.5, v65
	v_sub_f16_e32 v69, v26, v60
	v_fma_f16 v59, v23, s12, v62
	v_sub_f16_e32 v64, v27, v28
	v_fma_f16 v70, v69, s16, v68
	;; [unrolled: 2-line block ×3, first 2 shown]
	v_fma_f16 v70, v71, s15, v70
	v_fma_f16 v59, v66, s14, v59
	;; [unrolled: 1-line block ×3, first 2 shown]
	v_sub_f16_e32 v26, v29, v26
	v_sub_f16_e32 v29, v30, v60
	v_pack_b32_f16 v70, v59, v70
	v_add_u32_e32 v59, 0x200, v58
	v_add_f16_e32 v26, v26, v29
	v_fma_f16 v29, v64, s16, v63
	v_fma_f16 v30, v64, s12, v63
	ds_write2_b32 v31, v73, v80 offset1:25
	ds_write2_b32 v59, v21, v70 offset0:122 offset1:147
	v_fma_f16 v21, v23, s16, v62
	v_fma_f16 v29, v23, s13, v29
	;; [unrolled: 1-line block ×3, first 2 shown]
	v_add_f16_e32 v30, v24, v61
	v_fma_f16 v30, v30, -0.5, v65
	v_sub_f16_e32 v24, v27, v24
	v_sub_f16_e32 v27, v28, v61
	v_fma_f16 v29, v26, s14, v29
	v_fma_f16 v23, v26, s14, v23
	;; [unrolled: 1-line block ×3, first 2 shown]
	v_add_f16_e32 v24, v24, v27
	v_fma_f16 v27, v71, s12, v30
	v_fma_f16 v28, v71, s16, v30
	;; [unrolled: 1-line block ×10, first 2 shown]
	v_pack_b32_f16 v27, v29, v27
	v_pack_b32_f16 v23, v23, v24
	v_add_u32_e32 v60, 0x400, v58
	v_pack_b32_f16 v21, v21, v26
	v_lshlrev_b32_e32 v66, 3, v48
	ds_write2_b32 v60, v27, v23 offset0:44 offset1:69
	ds_write_b32 v58, v21 offset:1400
	s_waitcnt lgkmcnt(0)
	s_barrier
	global_load_dwordx2 v[23:24], v66, s[2:3] offset:480
	v_lshlrev_b32_e32 v21, 3, v22
	global_load_dwordx2 v[21:22], v21, s[2:3] offset:480
	ds_read2_b32 v[29:30], v43 offset0:122 offset1:147
	global_load_dwordx2 v[25:26], v25, s[2:3] offset:480
	v_add_u32_e32 v27, 0x258, v66
	global_load_dwordx2 v[27:28], v27, s[2:3] offset:480
	s_waitcnt lgkmcnt(0)
	v_lshrrev_b32_e32 v61, 16, v29
	s_waitcnt vmcnt(3)
	v_mul_f16_sdwa v62, v29, v24 dst_sel:DWORD dst_unused:UNUSED_PAD src0_sel:DWORD src1_sel:WORD_1
	v_fma_f16 v63, v61, v24, v62
	v_mul_f16_sdwa v61, v61, v24 dst_sel:DWORD dst_unused:UNUSED_PAD src0_sel:DWORD src1_sel:WORD_1
	v_fma_f16 v64, v29, v24, -v61
	ds_read2_b32 v[61:62], v31 offset0:100 offset1:125
	v_lshrrev_b32_e32 v29, 16, v30
	s_waitcnt vmcnt(2)
	v_mul_f16_sdwa v65, v29, v22 dst_sel:DWORD dst_unused:UNUSED_PAD src0_sel:DWORD src1_sel:WORD_1
	v_fma_f16 v70, v30, v22, -v65
	v_mul_f16_sdwa v30, v30, v22 dst_sel:DWORD dst_unused:UNUSED_PAD src0_sel:DWORD src1_sel:WORD_1
	v_fma_f16 v71, v29, v22, v30
	ds_read2_b32 v[29:30], v31 offset1:25
	s_waitcnt lgkmcnt(1)
	v_lshrrev_b32_e32 v65, 16, v62
	v_mul_f16_sdwa v67, v62, v23 dst_sel:DWORD dst_unused:UNUSED_PAD src0_sel:DWORD src1_sel:WORD_1
	v_fma_f16 v67, v65, v23, v67
	v_mul_f16_sdwa v65, v65, v23 dst_sel:DWORD dst_unused:UNUSED_PAD src0_sel:DWORD src1_sel:WORD_1
	v_fma_f16 v65, v62, v23, -v65
	v_add_f16_e32 v62, v65, v64
	s_waitcnt lgkmcnt(0)
	v_fma_f16 v62, v62, -0.5, v29
	v_sub_f16_e32 v68, v67, v63
	v_fma_f16 v69, v68, s18, v62
	v_fma_f16 v72, v68, s19, v62
	v_lshrrev_b32_e32 v62, 16, v29
	v_add_f16_e32 v68, v62, v67
	v_add_f16_e32 v68, v68, v63
	v_add_f16_e32 v63, v67, v63
	v_fma_f16 v67, v63, -0.5, v62
	ds_read2_b32 v[62:63], v31 offset0:150 offset1:175
	v_add_f16_e32 v29, v29, v65
	v_add_f16_e32 v29, v29, v64
	v_sub_f16_e32 v64, v65, v64
	v_fma_f16 v65, v64, s19, v67
	v_fma_f16 v73, v64, s18, v67
	s_waitcnt lgkmcnt(0)
	v_lshrrev_b32_e32 v64, 16, v62
	v_mul_f16_sdwa v67, v62, v21 dst_sel:DWORD dst_unused:UNUSED_PAD src0_sel:DWORD src1_sel:WORD_1
	v_fma_f16 v74, v64, v21, v67
	v_mul_f16_sdwa v64, v64, v21 dst_sel:DWORD dst_unused:UNUSED_PAD src0_sel:DWORD src1_sel:WORD_1
	v_fma_f16 v62, v62, v21, -v64
	v_add_f16_e32 v64, v62, v70
	v_pack_b32_f16 v78, v29, v68
	v_add_u32_e32 v29, 0x320, v66
	v_fma_f16 v75, v64, -0.5, v30
	v_lshrrev_b32_e32 v76, 16, v30
	v_add_f16_e32 v77, v30, v62
	global_load_dwordx2 v[29:30], v29, s[2:3] offset:480
	v_pack_b32_f16 v72, v72, v73
	v_add_f16_e32 v73, v76, v74
	v_pack_b32_f16 v79, v69, v65
	ds_read2_b32 v[64:65], v31 offset0:50 offset1:75
	ds_read2_b32 v[66:67], v49 offset0:44 offset1:69
	ds_read2_b32 v[68:69], v31 offset0:200 offset1:225
	ds_write_b32 v31, v72 offset:1000
	v_add_f16_e32 v72, v77, v70
	v_add_f16_e32 v73, v73, v71
	v_pack_b32_f16 v72, v72, v73
	ds_write_b32 v31, v79 offset:500
	ds_read_b32 v73, v31 offset:1400
	ds_write2_b32 v31, v78, v72 offset1:25
	v_lshrrev_b32_e32 v72, 16, v63
	s_waitcnt vmcnt(2)
	v_mul_f16_sdwa v77, v72, v25 dst_sel:DWORD dst_unused:UNUSED_PAD src0_sel:DWORD src1_sel:WORD_1
	v_fma_f16 v77, v63, v25, -v77
	v_mul_f16_sdwa v63, v63, v25 dst_sel:DWORD dst_unused:UNUSED_PAD src0_sel:DWORD src1_sel:WORD_1
	v_fma_f16 v63, v72, v25, v63
	v_sub_f16_e32 v72, v74, v71
	v_add_f16_e32 v71, v74, v71
	v_fma_f16 v71, v71, -0.5, v76
	v_sub_f16_e32 v62, v62, v70
	v_fma_f16 v78, v72, s18, v75
	v_fma_f16 v72, v72, s19, v75
	v_fma_f16 v70, v62, s19, v71
	v_fma_f16 v62, v62, s18, v71
	v_pack_b32_f16 v62, v72, v62
	ds_write_b32 v31, v62 offset:1100
	s_waitcnt lgkmcnt(6)
	v_lshrrev_b32_e32 v62, 16, v66
	v_mul_f16_sdwa v71, v66, v26 dst_sel:DWORD dst_unused:UNUSED_PAD src0_sel:DWORD src1_sel:WORD_1
	v_fma_f16 v71, v62, v26, v71
	v_mul_f16_sdwa v62, v62, v26 dst_sel:DWORD dst_unused:UNUSED_PAD src0_sel:DWORD src1_sel:WORD_1
	v_fma_f16 v62, v66, v26, -v62
	v_add_f16_e32 v66, v77, v62
	v_lshrrev_b32_e32 v72, 16, v64
	v_add_f16_e32 v74, v63, v71
	v_pack_b32_f16 v70, v78, v70
	v_fma_f16 v66, v66, -0.5, v64
	v_fma_f16 v74, v74, -0.5, v72
	v_sub_f16_e32 v75, v63, v71
	v_sub_f16_e32 v78, v77, v62
	v_fma_f16 v76, v75, s18, v66
	v_fma_f16 v79, v78, s19, v74
	v_pack_b32_f16 v76, v76, v79
	ds_write2_b32 v31, v70, v76 offset0:150 offset1:175
	v_lshrrev_b32_e32 v70, 16, v67
	s_waitcnt vmcnt(1)
	v_mul_f16_sdwa v76, v70, v28 dst_sel:DWORD dst_unused:UNUSED_PAD src0_sel:DWORD src1_sel:WORD_1
	v_fma_f16 v76, v67, v28, -v76
	v_mul_f16_sdwa v67, v67, v28 dst_sel:DWORD dst_unused:UNUSED_PAD src0_sel:DWORD src1_sel:WORD_1
	v_add_f16_e32 v64, v64, v77
	v_fma_f16 v67, v70, v28, v67
	v_add_f16_e32 v62, v64, v62
	s_waitcnt lgkmcnt(6)
	v_lshrrev_b32_e32 v64, 16, v68
	v_mul_f16_sdwa v70, v68, v27 dst_sel:DWORD dst_unused:UNUSED_PAD src0_sel:DWORD src1_sel:WORD_1
	v_fma_f16 v70, v64, v27, v70
	v_mul_f16_sdwa v64, v64, v27 dst_sel:DWORD dst_unused:UNUSED_PAD src0_sel:DWORD src1_sel:WORD_1
	v_fma_f16 v64, v68, v27, -v64
	v_add_f16_e32 v63, v72, v63
	v_add_f16_e32 v68, v64, v76
	;; [unrolled: 1-line block ×3, first 2 shown]
	v_fma_f16 v68, v68, -0.5, v65
	v_lshrrev_b32_e32 v71, 16, v65
	v_add_f16_e32 v65, v65, v64
	v_pack_b32_f16 v62, v62, v63
	v_add_f16_e32 v63, v65, v76
	v_add_f16_e32 v65, v71, v70
	;; [unrolled: 1-line block ×3, first 2 shown]
	v_pack_b32_f16 v63, v63, v65
	ds_write2_b32 v31, v62, v63 offset0:50 offset1:75
	v_fma_f16 v62, v75, s19, v66
	v_add_f16_e32 v66, v70, v67
	v_fma_f16 v63, v78, s18, v74
	v_sub_f16_e32 v65, v70, v67
	v_fma_f16 v66, v66, -0.5, v71
	v_sub_f16_e32 v64, v64, v76
	v_pack_b32_f16 v62, v62, v63
	v_fma_f16 v63, v65, s19, v68
	v_fma_f16 v67, v64, s18, v66
	v_pack_b32_f16 v63, v63, v67
	ds_write2_b32 v49, v62, v63 offset0:44 offset1:69
	v_lshrrev_b32_e32 v62, 16, v69
	s_waitcnt vmcnt(0)
	v_mul_f16_sdwa v67, v69, v29 dst_sel:DWORD dst_unused:UNUSED_PAD src0_sel:DWORD src1_sel:WORD_1
	v_mul_f16_sdwa v63, v62, v29 dst_sel:DWORD dst_unused:UNUSED_PAD src0_sel:DWORD src1_sel:WORD_1
	v_fma_f16 v62, v62, v29, v67
	s_waitcnt lgkmcnt(5)
	v_lshrrev_b32_e32 v67, 16, v73
	v_fma_f16 v63, v69, v29, -v63
	v_mul_f16_sdwa v69, v67, v30 dst_sel:DWORD dst_unused:UNUSED_PAD src0_sel:DWORD src1_sel:WORD_1
	v_mul_f16_sdwa v70, v73, v30 dst_sel:DWORD dst_unused:UNUSED_PAD src0_sel:DWORD src1_sel:WORD_1
	v_fma_f16 v69, v73, v30, -v69
	v_fma_f16 v67, v67, v30, v70
	v_fma_f16 v65, v65, s18, v68
	;; [unrolled: 1-line block ×3, first 2 shown]
	v_add_f16_e32 v66, v63, v69
	v_lshrrev_b32_e32 v68, 16, v61
	v_pack_b32_f16 v64, v65, v64
	v_add_f16_e32 v65, v62, v67
	v_fma_f16 v66, v66, -0.5, v61
	v_add_f16_e32 v61, v61, v63
	v_fma_f16 v65, v65, -0.5, v68
	v_sub_f16_e32 v63, v63, v69
	v_sub_f16_e32 v70, v62, v67
	v_fma_f16 v71, v70, s18, v66
	v_fma_f16 v72, v63, s19, v65
	v_add_f16_e32 v62, v68, v62
	v_pack_b32_f16 v71, v71, v72
	v_add_f16_e32 v61, v61, v69
	v_add_f16_e32 v62, v62, v67
	ds_write2_b32 v31, v64, v71 offset0:200 offset1:225
	v_fma_f16 v64, v70, s19, v66
	v_fma_f16 v63, v63, s18, v65
	v_pack_b32_f16 v61, v61, v62
	ds_write_b32 v31, v61 offset:400
	v_pack_b32_f16 v61, v64, v63
	ds_write_b32 v31, v61 offset:1400
	s_waitcnt lgkmcnt(0)
	s_barrier
	global_load_dword v63, v51, s[0:1] offset:1500
	global_load_dword v64, v51, s[6:7] offset:100
	;; [unrolled: 1-line block ×14, first 2 shown]
	ds_read2_b32 v[61:62], v31 offset1:25
	global_load_dword v51, v51, s[6:7] offset:1100
	s_mov_b32 s2, 0xc3ece2a5
	s_mov_b32 s3, 0x3f65d867
	s_movk_i32 s6, 0x1ff
	s_waitcnt lgkmcnt(0)
	v_lshrrev_b32_e32 v75, 16, v61
	s_movk_i32 s7, 0xffe
	s_waitcnt vmcnt(14)
	v_mul_f16_sdwa v77, v61, v63 dst_sel:DWORD dst_unused:UNUSED_PAD src0_sel:DWORD src1_sel:WORD_1
	v_fma_f16 v77, v75, v63, v77
	v_mul_f16_sdwa v75, v75, v63 dst_sel:DWORD dst_unused:UNUSED_PAD src0_sel:DWORD src1_sel:WORD_1
	v_fma_f16 v63, v61, v63, -v75
	v_lshrrev_b32_e32 v61, 16, v62
	s_waitcnt vmcnt(13)
	v_mul_f16_sdwa v75, v61, v64 dst_sel:DWORD dst_unused:UNUSED_PAD src0_sel:DWORD src1_sel:WORD_1
	v_fma_f16 v75, v62, v64, -v75
	v_mul_f16_sdwa v62, v62, v64 dst_sel:DWORD dst_unused:UNUSED_PAD src0_sel:DWORD src1_sel:WORD_1
	v_fma_f16 v64, v61, v64, v62
	ds_read2_b32 v[61:62], v31 offset0:150 offset1:175
	v_pack_b32_f16 v63, v63, v77
	v_pack_b32_f16 v64, v75, v64
	ds_write2_b32 v31, v63, v64 offset1:25
	s_waitcnt lgkmcnt(1)
	v_lshrrev_b32_e32 v63, 16, v61
	s_waitcnt vmcnt(12)
	v_mul_f16_sdwa v64, v61, v65 dst_sel:DWORD dst_unused:UNUSED_PAD src0_sel:DWORD src1_sel:WORD_1
	v_fma_f16 v64, v63, v65, v64
	v_mul_f16_sdwa v63, v63, v65 dst_sel:DWORD dst_unused:UNUSED_PAD src0_sel:DWORD src1_sel:WORD_1
	v_fma_f16 v63, v61, v65, -v63
	v_lshrrev_b32_e32 v65, 16, v62
	s_waitcnt vmcnt(11)
	v_mul_f16_sdwa v61, v65, v66 dst_sel:DWORD dst_unused:UNUSED_PAD src0_sel:DWORD src1_sel:WORD_1
	v_fma_f16 v75, v62, v66, -v61
	v_mul_f16_sdwa v77, v62, v66 dst_sel:DWORD dst_unused:UNUSED_PAD src0_sel:DWORD src1_sel:WORD_1
	ds_read2_b32 v[61:62], v49 offset0:44 offset1:69
	v_fma_f16 v65, v65, v66, v77
	v_pack_b32_f16 v63, v63, v64
	v_pack_b32_f16 v64, v75, v65
	ds_write2_b32 v31, v63, v64 offset0:150 offset1:175
	s_waitcnt lgkmcnt(1)
	v_lshrrev_b32_e32 v63, 16, v61
	s_waitcnt vmcnt(10)
	v_mul_f16_sdwa v64, v61, v67 dst_sel:DWORD dst_unused:UNUSED_PAD src0_sel:DWORD src1_sel:WORD_1
	v_fma_f16 v64, v63, v67, v64
	v_mul_f16_sdwa v63, v63, v67 dst_sel:DWORD dst_unused:UNUSED_PAD src0_sel:DWORD src1_sel:WORD_1
	v_lshrrev_b32_e32 v65, 16, v62
	v_fma_f16 v63, v61, v67, -v63
	s_waitcnt vmcnt(9)
	v_mul_f16_sdwa v61, v65, v68 dst_sel:DWORD dst_unused:UNUSED_PAD src0_sel:DWORD src1_sel:WORD_1
	v_fma_f16 v66, v62, v68, -v61
	v_mul_f16_sdwa v67, v62, v68 dst_sel:DWORD dst_unused:UNUSED_PAD src0_sel:DWORD src1_sel:WORD_1
	ds_read2_b32 v[61:62], v31 offset0:50 offset1:75
	v_fma_f16 v65, v65, v68, v67
	v_pack_b32_f16 v63, v63, v64
	v_pack_b32_f16 v64, v66, v65
	ds_write2_b32 v49, v63, v64 offset0:44 offset1:69
	s_waitcnt lgkmcnt(1)
	v_lshrrev_b32_e32 v63, 16, v62
	s_waitcnt vmcnt(8)
	v_mul_f16_sdwa v64, v62, v69 dst_sel:DWORD dst_unused:UNUSED_PAD src0_sel:DWORD src1_sel:WORD_1
	v_fma_f16 v64, v63, v69, v64
	v_mul_f16_sdwa v63, v63, v69 dst_sel:DWORD dst_unused:UNUSED_PAD src0_sel:DWORD src1_sel:WORD_1
	v_lshrrev_b32_e32 v65, 16, v61
	v_fma_f16 v63, v62, v69, -v63
	s_waitcnt vmcnt(4)
	v_mul_f16_sdwa v62, v65, v73 dst_sel:DWORD dst_unused:UNUSED_PAD src0_sel:DWORD src1_sel:WORD_1
	v_fma_f16 v66, v61, v73, -v62
	v_mul_f16_sdwa v67, v61, v73 dst_sel:DWORD dst_unused:UNUSED_PAD src0_sel:DWORD src1_sel:WORD_1
	ds_read2_b32 v[61:62], v31 offset0:100 offset1:125
	v_fma_f16 v65, v65, v73, v67
	v_pack_b32_f16 v63, v63, v64
	v_pack_b32_f16 v64, v66, v65
	ds_write2_b32 v31, v64, v63 offset0:50 offset1:75
	s_waitcnt lgkmcnt(1)
	v_lshrrev_b32_e32 v63, 16, v61
	v_mul_f16_sdwa v64, v61, v70 dst_sel:DWORD dst_unused:UNUSED_PAD src0_sel:DWORD src1_sel:WORD_1
	v_fma_f16 v64, v63, v70, v64
	v_mul_f16_sdwa v63, v63, v70 dst_sel:DWORD dst_unused:UNUSED_PAD src0_sel:DWORD src1_sel:WORD_1
	v_lshrrev_b32_e32 v65, 16, v62
	v_fma_f16 v63, v61, v70, -v63
	v_mul_f16_sdwa v61, v65, v72 dst_sel:DWORD dst_unused:UNUSED_PAD src0_sel:DWORD src1_sel:WORD_1
	v_fma_f16 v66, v62, v72, -v61
	v_mul_f16_sdwa v67, v62, v72 dst_sel:DWORD dst_unused:UNUSED_PAD src0_sel:DWORD src1_sel:WORD_1
	ds_read2_b32 v[61:62], v31 offset0:200 offset1:225
	v_fma_f16 v65, v65, v72, v67
	v_pack_b32_f16 v63, v63, v64
	v_pack_b32_f16 v64, v66, v65
	ds_write2_b32 v31, v63, v64 offset0:100 offset1:125
	s_waitcnt lgkmcnt(1)
	v_lshrrev_b32_e32 v63, 16, v62
	s_waitcnt vmcnt(3)
	v_mul_f16_sdwa v64, v62, v74 dst_sel:DWORD dst_unused:UNUSED_PAD src0_sel:DWORD src1_sel:WORD_1
	v_fma_f16 v64, v63, v74, v64
	v_mul_f16_sdwa v63, v63, v74 dst_sel:DWORD dst_unused:UNUSED_PAD src0_sel:DWORD src1_sel:WORD_1
	v_lshrrev_b32_e32 v65, 16, v61
	v_fma_f16 v63, v62, v74, -v63
	v_mul_f16_sdwa v62, v65, v71 dst_sel:DWORD dst_unused:UNUSED_PAD src0_sel:DWORD src1_sel:WORD_1
	v_fma_f16 v66, v61, v71, -v62
	v_mul_f16_sdwa v67, v61, v71 dst_sel:DWORD dst_unused:UNUSED_PAD src0_sel:DWORD src1_sel:WORD_1
	ds_read2_b32 v[61:62], v43 offset0:122 offset1:147
	v_fma_f16 v65, v65, v71, v67
	v_pack_b32_f16 v63, v63, v64
	v_pack_b32_f16 v64, v66, v65
	ds_write2_b32 v31, v64, v63 offset0:200 offset1:225
	s_waitcnt lgkmcnt(1)
	v_lshrrev_b32_e32 v63, 16, v61
	s_waitcnt vmcnt(1)
	v_mul_f16_sdwa v64, v61, v78 dst_sel:DWORD dst_unused:UNUSED_PAD src0_sel:DWORD src1_sel:WORD_1
	v_fma_f16 v64, v63, v78, v64
	v_mul_f16_sdwa v63, v63, v78 dst_sel:DWORD dst_unused:UNUSED_PAD src0_sel:DWORD src1_sel:WORD_1
	v_fma_f16 v61, v61, v78, -v63
	v_lshrrev_b32_e32 v63, 16, v62
	ds_read_b32 v66, v31 offset:1400
	s_waitcnt vmcnt(0)
	v_mul_f16_sdwa v65, v63, v51 dst_sel:DWORD dst_unused:UNUSED_PAD src0_sel:DWORD src1_sel:WORD_1
	v_fma_f16 v65, v62, v51, -v65
	v_mul_f16_sdwa v62, v62, v51 dst_sel:DWORD dst_unused:UNUSED_PAD src0_sel:DWORD src1_sel:WORD_1
	v_fma_f16 v51, v63, v51, v62
	v_pack_b32_f16 v61, v61, v64
	v_pack_b32_f16 v51, v65, v51
	ds_write2_b32 v43, v61, v51 offset0:122 offset1:147
	s_waitcnt lgkmcnt(1)
	v_lshrrev_b32_e32 v51, 16, v66
	v_mul_f16_sdwa v61, v51, v76 dst_sel:DWORD dst_unused:UNUSED_PAD src0_sel:DWORD src1_sel:WORD_1
	v_mul_f16_sdwa v62, v66, v76 dst_sel:DWORD dst_unused:UNUSED_PAD src0_sel:DWORD src1_sel:WORD_1
	v_fma_f16 v61, v66, v76, -v61
	v_fma_f16 v51, v51, v76, v62
	v_pack_b32_f16 v51, v61, v51
	ds_write_b32 v31, v51 offset:1400
	s_waitcnt lgkmcnt(0)
	s_barrier
	ds_read2_b32 v[61:62], v31 offset0:150 offset1:175
	ds_read2_b32 v[63:64], v31 offset0:50 offset1:75
	;; [unrolled: 1-line block ×4, first 2 shown]
	ds_read2_b32 v[69:70], v31 offset1:25
	s_waitcnt lgkmcnt(3)
	v_pk_add_f16 v51, v64, v61 neg_lo:[0,1] neg_hi:[0,1]
	s_waitcnt lgkmcnt(2)
	v_pk_add_f16 v75, v64, v65 neg_lo:[0,1] neg_hi:[0,1]
	;; [unrolled: 2-line block ×3, first 2 shown]
	v_pk_add_f16 v51, v51, v71
	v_pk_add_f16 v71, v61, v68
	s_waitcnt lgkmcnt(0)
	v_pk_fma_f16 v71, v71, 0.5, v69 op_sel_hi:[1,0,1] neg_lo:[1,0,0] neg_hi:[1,0,0]
	v_pk_mul_f16 v72, v75, s12 op_sel_hi:[1,0]
	v_pk_add_f16 v76, v61, v68 neg_lo:[0,1] neg_hi:[0,1]
	v_pk_add_f16 v73, v71, v72 op_sel:[0,1] op_sel_hi:[1,0] neg_lo:[0,1] neg_hi:[0,1]
	v_pk_add_f16 v71, v71, v72 op_sel:[0,1] op_sel_hi:[1,0]
	v_pk_mul_f16 v72, v76, s13 op_sel_hi:[1,0]
	v_pk_add_f16 v78, v71, v72 op_sel:[0,1] op_sel_hi:[1,0]
	v_pk_add_f16 v71, v69, v64
	v_pk_add_f16 v71, v71, v61
	;; [unrolled: 1-line block ×3, first 2 shown]
	v_pk_add_f16 v61, v61, v64 neg_lo:[0,1] neg_hi:[0,1]
	v_pk_add_f16 v64, v64, v65
	v_pk_add_f16 v79, v71, v65
	v_pk_add_f16 v68, v68, v65 neg_lo:[0,1] neg_hi:[0,1]
	v_pk_fma_f16 v64, v64, 0.5, v69 op_sel_hi:[1,0,1] neg_lo:[1,0,0] neg_hi:[1,0,0]
	v_pk_mul_f16 v65, v76, s12 op_sel_hi:[1,0]
	v_pk_add_f16 v77, v73, v72 op_sel:[0,1] op_sel_hi:[1,0] neg_lo:[0,1] neg_hi:[0,1]
	ds_read_b32 v80, v31 offset:1400
	ds_read2_b32 v[71:72], v31 offset0:100 offset1:125
	ds_read2_b32 v[73:74], v43 offset0:122 offset1:147
	v_pk_add_f16 v61, v61, v68
	v_pk_add_f16 v68, v64, v65 op_sel:[0,1] op_sel_hi:[1,0]
	v_pk_add_f16 v64, v64, v65 op_sel:[0,1] op_sel_hi:[1,0] neg_lo:[0,1] neg_hi:[0,1]
	v_pk_mul_f16 v65, v75, s13 op_sel_hi:[1,0]
	v_pk_add_f16 v68, v68, v65 op_sel:[0,1] op_sel_hi:[1,0] neg_lo:[0,1] neg_hi:[0,1]
	v_pk_add_f16 v64, v64, v65 op_sel:[0,1] op_sel_hi:[1,0]
	v_bfi_b32 v65, s17, v68, v64
	v_bfi_b32 v64, s17, v64, v68
	v_pk_fma_f16 v65, v61, s14, v65 op_sel_hi:[1,0,1]
	v_pk_fma_f16 v61, v61, s14, v64 op_sel_hi:[1,0,1]
	s_waitcnt lgkmcnt(0)
	s_barrier
	v_bfi_b32 v81, s17, v77, v78
	ds_write2_b32 v54, v65, v61 offset0:2 offset1:3
	v_bfi_b32 v61, s17, v78, v77
	v_pk_fma_f16 v81, v51, s14, v81 op_sel_hi:[1,0,1]
	v_pk_fma_f16 v51, v51, s14, v61 op_sel_hi:[1,0,1]
	v_pk_add_f16 v64, v71, v62 neg_lo:[0,1] neg_hi:[0,1]
	v_pk_add_f16 v65, v66, v73 neg_lo:[0,1] neg_hi:[0,1]
	ds_write_b32 v54, v51 offset:16
	v_pk_add_f16 v51, v62, v73
	v_pk_add_f16 v64, v64, v65
	v_pk_add_f16 v65, v71, v66 neg_lo:[0,1] neg_hi:[0,1]
	v_pk_fma_f16 v51, v51, 0.5, v70 op_sel_hi:[1,0,1] neg_lo:[1,0,0] neg_hi:[1,0,0]
	v_pk_mul_f16 v68, v65, s12 op_sel_hi:[1,0]
	ds_write2_b32 v54, v79, v81 offset1:1
	v_pk_add_f16 v54, v71, v66
	v_pk_add_f16 v69, v51, v68 op_sel:[0,1] op_sel_hi:[1,0] neg_lo:[0,1] neg_hi:[0,1]
	v_pk_add_f16 v51, v51, v68 op_sel:[0,1] op_sel_hi:[1,0]
	v_pk_add_f16 v68, v62, v73 neg_lo:[0,1] neg_hi:[0,1]
	v_pk_fma_f16 v54, v54, 0.5, v70 op_sel_hi:[1,0,1] neg_lo:[1,0,0] neg_hi:[1,0,0]
	v_pk_add_f16 v61, v70, v71
	v_pk_mul_f16 v70, v68, s13 op_sel_hi:[1,0]
	v_pk_add_f16 v69, v69, v70 op_sel:[0,1] op_sel_hi:[1,0] neg_lo:[0,1] neg_hi:[0,1]
	v_pk_add_f16 v51, v51, v70 op_sel:[0,1] op_sel_hi:[1,0]
	v_pk_add_f16 v61, v61, v62
	v_pk_add_f16 v61, v61, v73
	v_bfi_b32 v70, s17, v69, v51
	v_pk_add_f16 v61, v61, v66
	v_pk_fma_f16 v70, v64, s14, v70 op_sel_hi:[1,0,1]
	ds_write2_b32 v53, v61, v70 offset1:1
	v_pk_add_f16 v61, v62, v71 neg_lo:[0,1] neg_hi:[0,1]
	v_pk_add_f16 v62, v73, v66 neg_lo:[0,1] neg_hi:[0,1]
	v_pk_add_f16 v61, v61, v62
	v_pk_mul_f16 v62, v68, s12 op_sel_hi:[1,0]
	v_pk_add_f16 v66, v54, v62 op_sel:[0,1] op_sel_hi:[1,0]
	v_pk_add_f16 v54, v54, v62 op_sel:[0,1] op_sel_hi:[1,0] neg_lo:[0,1] neg_hi:[0,1]
	v_pk_mul_f16 v62, v65, s13 op_sel_hi:[1,0]
	v_pk_add_f16 v65, v66, v62 op_sel:[0,1] op_sel_hi:[1,0] neg_lo:[0,1] neg_hi:[0,1]
	v_pk_add_f16 v54, v54, v62 op_sel:[0,1] op_sel_hi:[1,0]
	v_bfi_b32 v62, s17, v65, v54
	v_bfi_b32 v54, s17, v54, v65
	;; [unrolled: 1-line block ×3, first 2 shown]
	v_pk_fma_f16 v62, v61, s14, v62 op_sel_hi:[1,0,1]
	v_pk_fma_f16 v54, v61, s14, v54 op_sel_hi:[1,0,1]
	;; [unrolled: 1-line block ×3, first 2 shown]
	ds_write2_b32 v53, v62, v54 offset0:2 offset1:3
	ds_write_b32 v53, v51 offset:16
	v_pk_add_f16 v51, v72, v67 neg_lo:[0,1] neg_hi:[0,1]
	v_pk_add_f16 v53, v80, v74 neg_lo:[0,1] neg_hi:[0,1]
	v_pk_add_f16 v51, v51, v53
	v_pk_add_f16 v53, v67, v74
	v_pk_add_f16 v54, v72, v80 neg_lo:[0,1] neg_hi:[0,1]
	v_pk_fma_f16 v53, v53, 0.5, v63 op_sel_hi:[1,0,1] neg_lo:[1,0,0] neg_hi:[1,0,0]
	v_pk_mul_f16 v61, v54, s12 op_sel_hi:[1,0]
	v_pk_add_f16 v62, v53, v61 op_sel:[0,1] op_sel_hi:[1,0] neg_lo:[0,1] neg_hi:[0,1]
	v_pk_add_f16 v53, v53, v61 op_sel:[0,1] op_sel_hi:[1,0]
	v_pk_add_f16 v61, v67, v74 neg_lo:[0,1] neg_hi:[0,1]
	v_pk_mul_f16 v64, v61, s13 op_sel_hi:[1,0]
	v_pk_add_f16 v62, v62, v64 op_sel:[0,1] op_sel_hi:[1,0] neg_lo:[0,1] neg_hi:[0,1]
	v_pk_add_f16 v53, v53, v64 op_sel:[0,1] op_sel_hi:[1,0]
	v_pk_add_f16 v64, v63, v72
	v_pk_add_f16 v64, v64, v67
	;; [unrolled: 1-line block ×3, first 2 shown]
	v_bfi_b32 v65, s17, v62, v53
	v_pk_add_f16 v64, v64, v80
	v_pk_fma_f16 v65, v51, s14, v65 op_sel_hi:[1,0,1]
	ds_write2_b32 v52, v64, v65 offset1:1
	v_pk_add_f16 v65, v72, v80
	v_pk_add_f16 v64, v67, v72 neg_lo:[0,1] neg_hi:[0,1]
	v_pk_fma_f16 v63, v65, 0.5, v63 op_sel_hi:[1,0,1] neg_lo:[1,0,0] neg_hi:[1,0,0]
	v_pk_add_f16 v65, v74, v80 neg_lo:[0,1] neg_hi:[0,1]
	v_pk_mul_f16 v61, v61, s12 op_sel_hi:[1,0]
	v_pk_add_f16 v64, v64, v65
	v_pk_add_f16 v65, v63, v61 op_sel:[0,1] op_sel_hi:[1,0]
	v_pk_add_f16 v61, v63, v61 op_sel:[0,1] op_sel_hi:[1,0] neg_lo:[0,1] neg_hi:[0,1]
	v_pk_mul_f16 v54, v54, s13 op_sel_hi:[1,0]
	v_pk_add_f16 v63, v65, v54 op_sel:[0,1] op_sel_hi:[1,0] neg_lo:[0,1] neg_hi:[0,1]
	v_pk_add_f16 v54, v61, v54 op_sel:[0,1] op_sel_hi:[1,0]
	v_bfi_b32 v61, s17, v63, v54
	v_bfi_b32 v54, s17, v54, v63
	;; [unrolled: 1-line block ×3, first 2 shown]
	v_pk_fma_f16 v61, v64, s14, v61 op_sel_hi:[1,0,1]
	v_pk_fma_f16 v54, v64, s14, v54 op_sel_hi:[1,0,1]
	;; [unrolled: 1-line block ×3, first 2 shown]
	ds_write2_b32 v52, v61, v54 offset0:2 offset1:3
	ds_write_b32 v52, v51 offset:16
	s_waitcnt lgkmcnt(0)
	s_barrier
	ds_read2_b32 v[51:52], v31 offset0:100 offset1:125
	ds_read2_b32 v[53:54], v31 offset0:150 offset1:175
	s_waitcnt lgkmcnt(1)
	v_lshrrev_b32_e32 v61, 16, v51
	v_mul_f16_sdwa v62, v8, v51 dst_sel:DWORD dst_unused:UNUSED_PAD src0_sel:WORD_1 src1_sel:DWORD
	v_fma_f16 v63, v8, v61, -v62
	v_mul_f16_sdwa v61, v8, v61 dst_sel:DWORD dst_unused:UNUSED_PAD src0_sel:WORD_1 src1_sel:DWORD
	v_fma_f16 v51, v8, v51, v61
	s_waitcnt lgkmcnt(0)
	v_lshrrev_b32_e32 v8, 16, v54
	ds_read2_b32 v[61:62], v43 offset0:122 offset1:147
	v_mul_f16_sdwa v64, v9, v54 dst_sel:DWORD dst_unused:UNUSED_PAD src0_sel:WORD_1 src1_sel:DWORD
	v_fma_f16 v64, v9, v8, -v64
	v_mul_f16_sdwa v8, v9, v8 dst_sel:DWORD dst_unused:UNUSED_PAD src0_sel:WORD_1 src1_sel:DWORD
	v_fma_f16 v54, v9, v54, v8
	ds_read2_b32 v[8:9], v49 offset0:44 offset1:69
	s_waitcnt lgkmcnt(1)
	v_lshrrev_b32_e32 v65, 16, v61
	v_mul_f16_sdwa v66, v10, v61 dst_sel:DWORD dst_unused:UNUSED_PAD src0_sel:WORD_1 src1_sel:DWORD
	v_fma_f16 v66, v10, v65, -v66
	v_mul_f16_sdwa v65, v10, v65 dst_sel:DWORD dst_unused:UNUSED_PAD src0_sel:WORD_1 src1_sel:DWORD
	v_fma_f16 v61, v10, v61, v65
	s_waitcnt lgkmcnt(0)
	v_lshrrev_b32_e32 v10, 16, v9
	v_mul_f16_sdwa v65, v11, v9 dst_sel:DWORD dst_unused:UNUSED_PAD src0_sel:WORD_1 src1_sel:DWORD
	v_fma_f16 v65, v11, v10, -v65
	v_mul_f16_sdwa v10, v11, v10 dst_sel:DWORD dst_unused:UNUSED_PAD src0_sel:WORD_1 src1_sel:DWORD
	v_fma_f16 v11, v11, v9, v10
	v_lshrrev_b32_e32 v9, 16, v52
	v_mul_f16_sdwa v10, v12, v9 dst_sel:DWORD dst_unused:UNUSED_PAD src0_sel:WORD_1 src1_sel:DWORD
	v_fma_f16 v67, v12, v52, v10
	v_mul_f16_sdwa v10, v12, v52 dst_sel:DWORD dst_unused:UNUSED_PAD src0_sel:WORD_1 src1_sel:DWORD
	v_fma_f16 v12, v12, v9, -v10
	v_lshrrev_b32_e32 v9, 16, v62
	ds_read_b32 v52, v31 offset:1400
	v_mul_f16_sdwa v10, v14, v9 dst_sel:DWORD dst_unused:UNUSED_PAD src0_sel:WORD_1 src1_sel:DWORD
	v_fma_f16 v68, v14, v62, v10
	v_mul_f16_sdwa v10, v14, v62 dst_sel:DWORD dst_unused:UNUSED_PAD src0_sel:WORD_1 src1_sel:DWORD
	v_fma_f16 v14, v14, v9, -v10
	ds_read2_b32 v[9:10], v31 offset0:200 offset1:225
	s_waitcnt lgkmcnt(1)
	v_lshrrev_b32_e32 v62, 16, v52
	v_mul_f16_sdwa v69, v15, v62 dst_sel:DWORD dst_unused:UNUSED_PAD src0_sel:WORD_1 src1_sel:DWORD
	v_fma_f16 v69, v15, v52, v69
	v_mul_f16_sdwa v52, v15, v52 dst_sel:DWORD dst_unused:UNUSED_PAD src0_sel:WORD_1 src1_sel:DWORD
	v_fma_f16 v15, v15, v62, -v52
	s_waitcnt lgkmcnt(0)
	v_lshrrev_b32_e32 v52, 16, v9
	v_mul_f16_sdwa v62, v13, v9 dst_sel:DWORD dst_unused:UNUSED_PAD src0_sel:WORD_1 src1_sel:DWORD
	v_fma_f16 v62, v13, v52, -v62
	v_mul_f16_sdwa v52, v13, v52 dst_sel:DWORD dst_unused:UNUSED_PAD src0_sel:WORD_1 src1_sel:DWORD
	v_fma_f16 v9, v13, v9, v52
	v_lshrrev_b32_e32 v13, 16, v53
	v_mul_f16_sdwa v52, v1, v13 dst_sel:DWORD dst_unused:UNUSED_PAD src0_sel:WORD_1 src1_sel:DWORD
	v_fma_f16 v52, v1, v53, v52
	v_mul_f16_sdwa v53, v1, v53 dst_sel:DWORD dst_unused:UNUSED_PAD src0_sel:WORD_1 src1_sel:DWORD
	v_fma_f16 v13, v1, v13, -v53
	v_lshrrev_b32_e32 v1, 16, v10
	v_mul_f16_sdwa v53, v2, v1 dst_sel:DWORD dst_unused:UNUSED_PAD src0_sel:WORD_1 src1_sel:DWORD
	v_fma_f16 v53, v2, v10, v53
	v_mul_f16_sdwa v10, v2, v10 dst_sel:DWORD dst_unused:UNUSED_PAD src0_sel:WORD_1 src1_sel:DWORD
	v_fma_f16 v10, v2, v1, -v10
	ds_read2_b32 v[1:2], v31 offset0:50 offset1:75
	v_lshrrev_b32_e32 v70, 16, v8
	v_mul_f16_sdwa v71, v3, v70 dst_sel:DWORD dst_unused:UNUSED_PAD src0_sel:WORD_1 src1_sel:DWORD
	v_fma_f16 v71, v3, v8, v71
	v_mul_f16_sdwa v8, v3, v8 dst_sel:DWORD dst_unused:UNUSED_PAD src0_sel:WORD_1 src1_sel:DWORD
	v_fma_f16 v8, v3, v70, -v8
	s_waitcnt lgkmcnt(0)
	v_lshrrev_b32_e32 v3, 16, v2
	v_mul_f16_sdwa v70, v0, v2 dst_sel:DWORD dst_unused:UNUSED_PAD src0_sel:WORD_1 src1_sel:DWORD
	v_fma_f16 v70, v0, v3, -v70
	v_mul_f16_sdwa v3, v0, v3 dst_sel:DWORD dst_unused:UNUSED_PAD src0_sel:WORD_1 src1_sel:DWORD
	v_fma_f16 v0, v0, v2, v3
	ds_read2_b32 v[2:3], v31 offset1:25
	v_sub_f16_e32 v72, v0, v52
	v_sub_f16_e32 v73, v71, v53
	v_add_f16_e32 v72, v72, v73
	v_sub_f16_e32 v73, v70, v13
	v_sub_f16_e32 v74, v8, v10
	s_waitcnt lgkmcnt(0)
	v_lshrrev_b32_e32 v75, 16, v2
	v_add_f16_e32 v73, v73, v74
	v_add_f16_e32 v74, v2, v0
	;; [unrolled: 1-line block ×9, first 2 shown]
	v_pack_b32_f16 v74, v74, v76
	v_add_f16_e32 v76, v52, v53
	v_sub_f16_e32 v81, v0, v71
	v_sub_f16_e32 v83, v52, v53
	v_sub_f16_e32 v52, v52, v0
	v_add_f16_e32 v0, v0, v71
	v_sub_f16_e32 v79, v13, v10
	v_fma_f16 v0, v0, -0.5, v2
	v_fma_f16 v76, v76, -0.5, v2
	v_sub_f16_e32 v77, v70, v8
	v_sub_f16_e32 v53, v53, v71
	v_fma_f16 v2, v79, s12, v0
	v_fma_f16 v0, v79, s16, v0
	v_add_f16_e32 v52, v52, v53
	v_fma_f16 v2, v77, s15, v2
	v_fma_f16 v0, v77, s13, v0
	v_fma_f16 v2, v52, s14, v2
	v_fma_f16 v0, v52, s14, v0
	v_add_f16_e32 v52, v70, v8
	v_add_f16_e32 v80, v13, v10
	v_fma_f16 v52, v52, -0.5, v75
	v_sub_f16_e32 v13, v13, v70
	v_sub_f16_e32 v8, v10, v8
	v_add_f16_e32 v8, v13, v8
	v_fma_f16 v10, v83, s16, v52
	v_fma_f16 v13, v83, s12, v52
	;; [unrolled: 1-line block ×6, first 2 shown]
	v_fma_f16 v80, v80, -0.5, v75
	v_pack_b32_f16 v2, v2, v10
	v_pack_b32_f16 v0, v0, v8
	s_barrier
	ds_write2_b32 v56, v2, v0 offset0:10 offset1:15
	v_fma_f16 v0, v77, s12, v76
	v_fma_f16 v2, v81, s16, v80
	;; [unrolled: 1-line block ×6, first 2 shown]
	v_pack_b32_f16 v0, v0, v2
	v_sub_f16_e32 v10, v51, v54
	v_sub_f16_e32 v13, v11, v61
	ds_write_b32 v56, v0 offset:80
	v_add_f16_e32 v0, v54, v61
	v_add_f16_e32 v2, v51, v11
	v_lshrrev_b32_e32 v8, 16, v3
	v_add_f16_e32 v10, v10, v13
	v_sub_f16_e32 v13, v63, v64
	v_sub_f16_e32 v52, v65, v66
	v_fma_f16 v0, v0, -0.5, v3
	v_fma_f16 v2, v2, -0.5, v3
	v_add_f16_e32 v3, v3, v51
	v_add_f16_e32 v13, v13, v52
	;; [unrolled: 1-line block ×3, first 2 shown]
	v_fma_f16 v78, v77, s16, v76
	v_fma_f16 v82, v81, s12, v80
	v_add_f16_e32 v3, v3, v54
	v_add_f16_e32 v52, v52, v64
	v_fma_f16 v78, v79, s15, v78
	v_fma_f16 v82, v83, s13, v82
	v_add_f16_e32 v3, v3, v61
	v_add_f16_e32 v52, v52, v66
	;; [unrolled: 4-line block ×3, first 2 shown]
	v_add_f16_e32 v70, v64, v66
	v_pack_b32_f16 v78, v78, v82
	v_pack_b32_f16 v3, v3, v52
	v_sub_f16_e32 v52, v63, v65
	v_fma_f16 v70, v70, -0.5, v8
	v_sub_f16_e32 v71, v51, v11
	ds_write2_b32 v56, v74, v78 offset1:5
	v_fma_f16 v53, v52, s16, v0
	v_sub_f16_e32 v56, v64, v66
	v_fma_f16 v72, v71, s12, v70
	v_sub_f16_e32 v73, v54, v61
	v_fma_f16 v53, v56, s15, v53
	v_fma_f16 v72, v73, s13, v72
	;; [unrolled: 1-line block ×5, first 2 shown]
	v_pack_b32_f16 v53, v53, v72
	v_fma_f16 v0, v56, s13, v0
	ds_write2_b32 v55, v3, v53 offset1:5
	v_fma_f16 v0, v10, s14, v0
	v_sub_f16_e32 v3, v54, v51
	v_sub_f16_e32 v10, v61, v11
	v_add_f16_e32 v3, v3, v10
	v_fma_f16 v10, v56, s12, v2
	v_fma_f16 v2, v56, s16, v2
	;; [unrolled: 1-line block ×8, first 2 shown]
	v_add_f16_e32 v11, v63, v65
	v_fma_f16 v3, v13, s14, v3
	v_fma_f16 v8, v11, -0.5, v8
	v_sub_f16_e32 v11, v64, v63
	v_sub_f16_e32 v13, v66, v65
	v_add_f16_e32 v11, v11, v13
	v_fma_f16 v13, v73, s16, v8
	v_fma_f16 v8, v73, s12, v8
	;; [unrolled: 1-line block ×6, first 2 shown]
	v_add_f16_e32 v11, v9, v68
	v_sub_f16_e32 v53, v67, v9
	v_sub_f16_e32 v54, v69, v68
	v_fma_f16 v11, v11, -0.5, v1
	v_add_f16_e32 v53, v53, v54
	v_sub_f16_e32 v54, v12, v15
	v_fma_f16 v56, v54, s16, v11
	v_sub_f16_e32 v61, v62, v14
	v_fma_f16 v11, v54, s12, v11
	v_add_f16_e32 v51, v67, v69
	v_fma_f16 v56, v61, s15, v56
	v_fma_f16 v11, v61, s13, v11
	v_fma_f16 v51, v51, -0.5, v1
	v_fma_f16 v56, v53, s14, v56
	v_fma_f16 v11, v53, s14, v11
	v_sub_f16_e32 v53, v9, v67
	v_sub_f16_e32 v63, v68, v69
	v_add_f16_e32 v53, v53, v63
	v_fma_f16 v63, v61, s12, v51
	v_fma_f16 v51, v61, s16, v51
	;; [unrolled: 1-line block ×5, first 2 shown]
	v_sub_f16_e32 v61, v12, v62
	v_sub_f16_e32 v63, v15, v14
	v_lshrrev_b32_e32 v52, 16, v1
	v_add_f16_e32 v61, v61, v63
	v_add_f16_e32 v63, v62, v14
	;; [unrolled: 1-line block ×3, first 2 shown]
	v_fma_f16 v51, v53, s14, v51
	v_sub_f16_e32 v53, v67, v69
	v_fma_f16 v63, v63, -0.5, v52
	v_add_f16_e32 v1, v1, v9
	v_sub_f16_e32 v9, v9, v68
	v_fma_f16 v64, v53, s12, v63
	v_fma_f16 v63, v53, s16, v63
	v_fma_f16 v64, v9, s13, v64
	v_fma_f16 v63, v9, s15, v63
	v_fma_f16 v64, v61, s14, v64
	v_fma_f16 v61, v61, s14, v63
	v_add_f16_e32 v63, v12, v15
	v_fma_f16 v63, v63, -0.5, v52
	v_add_f16_e32 v52, v52, v12
	v_add_f16_e32 v52, v52, v62
	v_sub_f16_e32 v12, v62, v12
	v_add_f16_e32 v52, v52, v14
	v_sub_f16_e32 v14, v14, v15
	v_add_f16_e32 v1, v1, v68
	v_add_f16_e32 v12, v12, v14
	v_fma_f16 v14, v9, s16, v63
	v_fma_f16 v9, v9, s12, v63
	v_add_f16_e32 v1, v1, v69
	v_add_f16_e32 v52, v52, v15
	v_fma_f16 v14, v53, s13, v14
	v_fma_f16 v9, v53, s15, v9
	v_pack_b32_f16 v0, v0, v3
	v_fma_f16 v14, v12, s14, v14
	v_fma_f16 v9, v12, s14, v9
	v_pack_b32_f16 v10, v10, v13
	v_pack_b32_f16 v2, v2, v8
	ds_write_b32 v55, v0 offset:80
	v_pack_b32_f16 v0, v1, v52
	v_pack_b32_f16 v1, v56, v64
	ds_write2_b32 v55, v10, v2 offset0:10 offset1:15
	ds_write2_b32 v57, v0, v1 offset1:5
	v_pack_b32_f16 v0, v54, v14
	v_pack_b32_f16 v1, v51, v9
	ds_write2_b32 v57, v0, v1 offset0:10 offset1:15
	v_pack_b32_f16 v0, v11, v61
	ds_write_b32 v57, v0 offset:80
	s_waitcnt lgkmcnt(0)
	s_barrier
	ds_read2_b32 v[0:1], v31 offset0:150 offset1:175
	ds_read2_b32 v[2:3], v31 offset0:100 offset1:125
	;; [unrolled: 1-line block ×4, first 2 shown]
	ds_read_b32 v12, v31 offset:1400
	s_waitcnt lgkmcnt(4)
	v_lshrrev_b32_e32 v13, 16, v0
	s_waitcnt lgkmcnt(3)
	v_lshrrev_b32_e32 v14, 16, v3
	v_mul_f16_sdwa v53, v16, v14 dst_sel:DWORD dst_unused:UNUSED_PAD src0_sel:WORD_1 src1_sel:DWORD
	s_waitcnt lgkmcnt(2)
	v_lshrrev_b32_e32 v15, 16, v8
	v_fma_f16 v53, v16, v3, v53
	v_mul_f16_sdwa v3, v16, v3 dst_sel:DWORD dst_unused:UNUSED_PAD src0_sel:WORD_1 src1_sel:DWORD
	v_fma_f16 v14, v16, v14, -v3
	v_mul_f16_sdwa v3, v17, v15 dst_sel:DWORD dst_unused:UNUSED_PAD src0_sel:WORD_1 src1_sel:DWORD
	s_waitcnt lgkmcnt(0)
	v_lshrrev_b32_e32 v52, 16, v12
	v_fma_f16 v16, v17, v8, v3
	v_mul_f16_sdwa v3, v17, v8 dst_sel:DWORD dst_unused:UNUSED_PAD src0_sel:WORD_1 src1_sel:DWORD
	v_fma_f16 v8, v17, v15, -v3
	v_mul_f16_sdwa v3, v19, v52 dst_sel:DWORD dst_unused:UNUSED_PAD src0_sel:WORD_1 src1_sel:DWORD
	v_fma_f16 v15, v19, v12, v3
	v_mul_f16_sdwa v3, v19, v12 dst_sel:DWORD dst_unused:UNUSED_PAD src0_sel:WORD_1 src1_sel:DWORD
	v_lshrrev_b32_e32 v51, 16, v11
	v_fma_f16 v12, v19, v52, -v3
	v_mul_f16_sdwa v3, v18, v11 dst_sel:DWORD dst_unused:UNUSED_PAD src0_sel:WORD_1 src1_sel:DWORD
	v_fma_f16 v17, v18, v51, -v3
	v_mul_f16_sdwa v3, v18, v51 dst_sel:DWORD dst_unused:UNUSED_PAD src0_sel:WORD_1 src1_sel:DWORD
	v_fma_f16 v11, v18, v11, v3
	v_lshrrev_b32_e32 v3, 16, v9
	v_mul_f16_sdwa v51, v6, v3 dst_sel:DWORD dst_unused:UNUSED_PAD src0_sel:WORD_1 src1_sel:DWORD
	v_lshrrev_b32_e32 v18, 16, v2
	v_fma_f16 v51, v6, v9, v51
	v_mul_f16_sdwa v9, v6, v9 dst_sel:DWORD dst_unused:UNUSED_PAD src0_sel:WORD_1 src1_sel:DWORD
	v_fma_f16 v9, v6, v3, -v9
	v_mul_f16_sdwa v3, v4, v18 dst_sel:DWORD dst_unused:UNUSED_PAD src0_sel:WORD_1 src1_sel:DWORD
	v_fma_f16 v54, v4, v2, v3
	v_mul_f16_sdwa v3, v5, v0 dst_sel:DWORD dst_unused:UNUSED_PAD src0_sel:WORD_1 src1_sel:DWORD
	v_lshrrev_b32_e32 v19, 16, v1
	v_fma_f16 v55, v5, v13, -v3
	v_mul_f16_sdwa v3, v5, v13 dst_sel:DWORD dst_unused:UNUSED_PAD src0_sel:WORD_1 src1_sel:DWORD
	v_fma_f16 v13, v5, v0, v3
	v_mul_f16_sdwa v0, v5, v19 dst_sel:DWORD dst_unused:UNUSED_PAD src0_sel:WORD_1 src1_sel:DWORD
	v_fma_f16 v56, v5, v1, v0
	v_mul_f16_sdwa v0, v5, v1 dst_sel:DWORD dst_unused:UNUSED_PAD src0_sel:WORD_1 src1_sel:DWORD
	v_fma_f16 v5, v5, v19, -v0
	ds_read2_b32 v[0:1], v49 offset0:44 offset1:69
	v_lshrrev_b32_e32 v52, 16, v10
	v_mul_f16_sdwa v2, v4, v2 dst_sel:DWORD dst_unused:UNUSED_PAD src0_sel:WORD_1 src1_sel:DWORD
	v_fma_f16 v18, v4, v18, -v2
	v_mul_f16_sdwa v2, v6, v52 dst_sel:DWORD dst_unused:UNUSED_PAD src0_sel:WORD_1 src1_sel:DWORD
	v_fma_f16 v19, v6, v10, v2
	v_mul_f16_sdwa v2, v6, v10 dst_sel:DWORD dst_unused:UNUSED_PAD src0_sel:WORD_1 src1_sel:DWORD
	v_fma_f16 v6, v6, v52, -v2
	s_waitcnt lgkmcnt(0)
	v_lshrrev_b32_e32 v2, 16, v0
	v_mul_f16_sdwa v3, v7, v0 dst_sel:DWORD dst_unused:UNUSED_PAD src0_sel:WORD_1 src1_sel:DWORD
	v_fma_f16 v10, v7, v2, -v3
	v_mul_f16_sdwa v2, v7, v2 dst_sel:DWORD dst_unused:UNUSED_PAD src0_sel:WORD_1 src1_sel:DWORD
	v_fma_f16 v52, v7, v0, v2
	ds_read2_b32 v[2:3], v31 offset0:50 offset1:75
	v_lshrrev_b32_e32 v0, 16, v1
	v_mul_f16_sdwa v57, v7, v0 dst_sel:DWORD dst_unused:UNUSED_PAD src0_sel:WORD_1 src1_sel:DWORD
	v_fma_f16 v57, v7, v1, v57
	v_mul_f16_sdwa v1, v7, v1 dst_sel:DWORD dst_unused:UNUSED_PAD src0_sel:WORD_1 src1_sel:DWORD
	v_fma_f16 v7, v7, v0, -v1
	s_waitcnt lgkmcnt(0)
	v_lshrrev_b32_e32 v0, 16, v3
	v_mul_f16_sdwa v1, v4, v3 dst_sel:DWORD dst_unused:UNUSED_PAD src0_sel:WORD_1 src1_sel:DWORD
	v_fma_f16 v61, v4, v0, -v1
	v_mul_f16_sdwa v0, v4, v0 dst_sel:DWORD dst_unused:UNUSED_PAD src0_sel:WORD_1 src1_sel:DWORD
	v_fma_f16 v3, v4, v3, v0
	ds_read2_b32 v[0:1], v31 offset1:25
	v_sub_f16_e32 v4, v3, v13
	v_sub_f16_e32 v62, v52, v51
	v_add_f16_e32 v4, v4, v62
	v_sub_f16_e32 v62, v61, v55
	v_sub_f16_e32 v63, v10, v9
	s_waitcnt lgkmcnt(0)
	v_lshrrev_b32_e32 v64, 16, v0
	v_add_f16_e32 v62, v62, v63
	v_add_f16_e32 v63, v0, v3
	;; [unrolled: 1-line block ×9, first 2 shown]
	v_pack_b32_f16 v63, v63, v65
	v_add_f16_e32 v65, v13, v51
	v_add_f16_e32 v69, v55, v9
	v_sub_f16_e32 v70, v3, v52
	v_sub_f16_e32 v72, v13, v51
	;; [unrolled: 1-line block ×3, first 2 shown]
	v_add_f16_e32 v3, v3, v52
	v_fma_f16 v65, v65, -0.5, v0
	v_sub_f16_e32 v66, v61, v10
	v_sub_f16_e32 v68, v55, v9
	v_fma_f16 v69, v69, -0.5, v64
	v_sub_f16_e32 v51, v51, v52
	v_fma_f16 v0, v3, -0.5, v0
	v_fma_f16 v67, v66, s16, v65
	v_fma_f16 v71, v70, s12, v69
	v_add_f16_e32 v13, v13, v51
	v_fma_f16 v3, v68, s12, v0
	v_fma_f16 v0, v68, s16, v0
	v_add_f16_e32 v51, v61, v10
	v_fma_f16 v67, v68, s15, v67
	v_fma_f16 v71, v72, s13, v71
	;; [unrolled: 1-line block ×4, first 2 shown]
	v_fma_f16 v51, v51, -0.5, v64
	v_fma_f16 v67, v4, s14, v67
	v_fma_f16 v71, v62, s14, v71
	;; [unrolled: 1-line block ×5, first 2 shown]
	v_sub_f16_e32 v52, v55, v61
	v_sub_f16_e32 v9, v9, v10
	v_fma_f16 v10, v72, s16, v51
	v_fma_f16 v51, v72, s12, v51
	v_pack_b32_f16 v67, v67, v71
	v_fma_f16 v13, v72, s15, v13
	v_add_f16_e32 v9, v52, v9
	v_fma_f16 v10, v70, s13, v10
	v_fma_f16 v51, v70, s15, v51
	s_barrier
	ds_write2_b32 v31, v63, v67 offset1:25
	v_fma_f16 v63, v66, s12, v65
	v_fma_f16 v13, v62, s14, v13
	;; [unrolled: 1-line block ×4, first 2 shown]
	v_add_f16_e32 v51, v56, v19
	v_add_f16_e32 v52, v54, v57
	v_sub_f16_e32 v61, v54, v56
	v_sub_f16_e32 v62, v57, v19
	v_fma_f16 v63, v68, s13, v63
	v_fma_f16 v51, v51, -0.5, v1
	v_fma_f16 v52, v52, -0.5, v1
	v_lshrrev_b32_e32 v55, 16, v1
	v_add_f16_e32 v1, v1, v54
	v_add_f16_e32 v61, v61, v62
	v_sub_f16_e32 v62, v18, v7
	v_fma_f16 v4, v4, s14, v63
	v_fma_f16 v63, v62, s16, v51
	v_sub_f16_e32 v64, v5, v6
	v_fma_f16 v51, v62, s12, v51
	v_add_f16_e32 v1, v1, v56
	v_fma_f16 v63, v64, s15, v63
	v_fma_f16 v51, v64, s13, v51
	v_add_f16_e32 v1, v1, v19
	v_fma_f16 v63, v61, s14, v63
	v_fma_f16 v51, v61, s14, v51
	v_sub_f16_e32 v61, v56, v54
	v_sub_f16_e32 v65, v19, v57
	v_add_f16_e32 v1, v1, v57
	v_sub_f16_e32 v54, v54, v57
	v_sub_f16_e32 v19, v56, v19
	;; [unrolled: 1-line block ×4, first 2 shown]
	v_add_f16_e32 v61, v61, v65
	v_fma_f16 v65, v64, s12, v52
	v_fma_f16 v52, v64, s16, v52
	v_add_f16_e32 v56, v56, v57
	v_add_f16_e32 v57, v5, v6
	v_fma_f16 v64, v62, s15, v65
	v_fma_f16 v52, v62, s13, v52
	v_fma_f16 v57, v57, -0.5, v55
	v_fma_f16 v62, v61, s14, v64
	v_fma_f16 v52, v61, s14, v52
	;; [unrolled: 1-line block ×8, first 2 shown]
	v_add_f16_e32 v57, v18, v7
	v_fma_f16 v57, v57, -0.5, v55
	v_add_f16_e32 v55, v55, v18
	v_add_f16_e32 v55, v55, v5
	v_sub_f16_e32 v5, v5, v18
	v_add_f16_e32 v18, v55, v6
	v_sub_f16_e32 v6, v6, v7
	v_add_f16_e32 v18, v18, v7
	v_add_f16_e32 v5, v5, v6
	v_fma_f16 v6, v19, s16, v57
	v_fma_f16 v7, v19, s12, v57
	;; [unrolled: 1-line block ×6, first 2 shown]
	v_add_f16_e32 v7, v16, v11
	v_add_f16_e32 v19, v53, v15
	v_sub_f16_e32 v55, v53, v16
	v_sub_f16_e32 v57, v15, v11
	v_fma_f16 v7, v7, -0.5, v2
	v_fma_f16 v19, v19, -0.5, v2
	v_lshrrev_b32_e32 v54, 16, v2
	v_add_f16_e32 v2, v2, v53
	v_add_f16_e32 v55, v55, v57
	v_sub_f16_e32 v57, v14, v12
	v_fma_f16 v64, v57, s16, v7
	v_sub_f16_e32 v65, v8, v17
	v_fma_f16 v7, v57, s12, v7
	v_add_f16_e32 v2, v2, v16
	v_fma_f16 v64, v65, s15, v64
	v_fma_f16 v7, v65, s13, v7
	v_add_f16_e32 v2, v2, v11
	v_fma_f16 v64, v55, s14, v64
	v_fma_f16 v7, v55, s14, v7
	v_sub_f16_e32 v55, v16, v53
	v_sub_f16_e32 v66, v11, v15
	v_add_f16_e32 v2, v2, v15
	v_sub_f16_e32 v15, v53, v15
	v_sub_f16_e32 v11, v16, v11
	;; [unrolled: 1-line block ×4, first 2 shown]
	v_add_f16_e32 v55, v55, v66
	v_fma_f16 v66, v65, s12, v19
	v_fma_f16 v19, v65, s16, v19
	v_add_f16_e32 v16, v16, v53
	v_add_f16_e32 v53, v8, v17
	v_fma_f16 v65, v57, s15, v66
	v_fma_f16 v19, v57, s13, v19
	v_fma_f16 v53, v53, -0.5, v54
	v_fma_f16 v57, v55, s14, v65
	v_fma_f16 v19, v55, s14, v19
	;; [unrolled: 1-line block ×8, first 2 shown]
	v_add_f16_e32 v53, v14, v12
	v_fma_f16 v53, v53, -0.5, v54
	v_add_f16_e32 v54, v54, v14
	v_add_f16_e32 v54, v54, v8
	v_sub_f16_e32 v8, v8, v14
	v_add_f16_e32 v14, v54, v17
	v_pack_b32_f16 v3, v3, v10
	v_pack_b32_f16 v0, v0, v9
	v_add_f16_e32 v14, v14, v12
	v_sub_f16_e32 v12, v17, v12
	ds_write2_b32 v31, v3, v0 offset0:50 offset1:75
	v_pack_b32_f16 v0, v4, v13
	v_pack_b32_f16 v1, v1, v18
	v_add_f16_e32 v8, v8, v12
	v_fma_f16 v12, v11, s16, v53
	v_fma_f16 v11, v11, s12, v53
	ds_write2_b32 v31, v0, v1 offset0:100 offset1:125
	v_pack_b32_f16 v0, v63, v61
	v_pack_b32_f16 v1, v62, v6
	v_fma_f16 v12, v15, s13, v12
	v_fma_f16 v11, v15, s15, v11
	ds_write2_b32 v31, v0, v1 offset0:150 offset1:175
	v_pack_b32_f16 v0, v52, v5
	v_pack_b32_f16 v1, v51, v56
	;; [unrolled: 5-line block ×3, first 2 shown]
	ds_write2_b32 v59, v0, v1 offset0:122 offset1:147
	v_pack_b32_f16 v0, v57, v12
	v_pack_b32_f16 v1, v19, v8
	ds_write2_b32 v60, v0, v1 offset0:44 offset1:69
	v_pack_b32_f16 v0, v7, v16
	ds_write_b32 v58, v0 offset:1400
	s_waitcnt lgkmcnt(0)
	s_barrier
	ds_read2_b32 v[0:1], v31 offset1:25
	ds_read2_b32 v[2:3], v31 offset0:100 offset1:125
	ds_read2_b32 v[4:5], v43 offset0:122 offset1:147
	;; [unrolled: 1-line block ×5, first 2 shown]
	s_waitcnt lgkmcnt(4)
	v_lshrrev_b32_e32 v15, 16, v3
	v_mul_f16_sdwa v57, v23, v15 dst_sel:DWORD dst_unused:UNUSED_PAD src0_sel:WORD_1 src1_sel:DWORD
	s_waitcnt lgkmcnt(3)
	v_lshrrev_b32_e32 v19, 16, v5
	v_fma_f16 v57, v23, v3, v57
	v_mul_f16_sdwa v3, v23, v3 dst_sel:DWORD dst_unused:UNUSED_PAD src0_sel:WORD_1 src1_sel:DWORD
	v_fma_f16 v3, v23, v15, -v3
	v_mul_f16_sdwa v23, v22, v19 dst_sel:DWORD dst_unused:UNUSED_PAD src0_sel:WORD_1 src1_sel:DWORD
	v_fma_f16 v23, v22, v5, v23
	v_mul_f16_sdwa v5, v22, v5 dst_sel:DWORD dst_unused:UNUSED_PAD src0_sel:WORD_1 src1_sel:DWORD
	s_waitcnt lgkmcnt(2)
	v_lshrrev_b32_e32 v18, 16, v6
	v_fma_f16 v5, v22, v19, -v5
	v_mul_f16_sdwa v19, v21, v6 dst_sel:DWORD dst_unused:UNUSED_PAD src0_sel:WORD_1 src1_sel:DWORD
	v_lshrrev_b32_e32 v52, 16, v7
	v_fma_f16 v19, v21, v18, -v19
	v_mul_f16_sdwa v18, v21, v18 dst_sel:DWORD dst_unused:UNUSED_PAD src0_sel:WORD_1 src1_sel:DWORD
	v_fma_f16 v6, v21, v6, v18
	v_mul_f16_sdwa v21, v25, v52 dst_sel:DWORD dst_unused:UNUSED_PAD src0_sel:WORD_1 src1_sel:DWORD
	v_lshrrev_b32_e32 v16, 16, v4
	s_waitcnt lgkmcnt(1)
	v_lshrrev_b32_e32 v53, 16, v10
	v_mul_f16_sdwa v15, v24, v4 dst_sel:DWORD dst_unused:UNUSED_PAD src0_sel:WORD_1 src1_sel:DWORD
	v_fma_f16 v21, v25, v7, v21
	v_mul_f16_sdwa v7, v25, v7 dst_sel:DWORD dst_unused:UNUSED_PAD src0_sel:WORD_1 src1_sel:DWORD
	s_waitcnt lgkmcnt(0)
	v_lshrrev_b32_e32 v55, 16, v12
	v_fma_f16 v15, v24, v16, -v15
	v_mul_f16_sdwa v16, v24, v16 dst_sel:DWORD dst_unused:UNUSED_PAD src0_sel:WORD_1 src1_sel:DWORD
	v_fma_f16 v7, v25, v52, -v7
	v_mul_f16_sdwa v25, v26, v10 dst_sel:DWORD dst_unused:UNUSED_PAD src0_sel:WORD_1 src1_sel:DWORD
	v_mul_f16_sdwa v52, v26, v53 dst_sel:DWORD dst_unused:UNUSED_PAD src0_sel:WORD_1 src1_sel:DWORD
	v_fma_f16 v4, v24, v4, v16
	ds_read_b32 v24, v31 offset:1400
	v_fma_f16 v25, v26, v53, -v25
	v_fma_f16 v10, v26, v10, v52
	v_mul_f16_sdwa v26, v27, v55 dst_sel:DWORD dst_unused:UNUSED_PAD src0_sel:WORD_1 src1_sel:DWORD
	v_lshrrev_b32_e32 v56, 16, v11
	v_fma_f16 v26, v27, v12, v26
	v_mul_f16_sdwa v12, v27, v12 dst_sel:DWORD dst_unused:UNUSED_PAD src0_sel:WORD_1 src1_sel:DWORD
	v_fma_f16 v12, v27, v55, -v12
	v_mul_f16_sdwa v27, v28, v56 dst_sel:DWORD dst_unused:UNUSED_PAD src0_sel:WORD_1 src1_sel:DWORD
	v_lshrrev_b32_e32 v18, 16, v13
	v_fma_f16 v27, v28, v11, v27
	v_mul_f16_sdwa v11, v28, v11 dst_sel:DWORD dst_unused:UNUSED_PAD src0_sel:WORD_1 src1_sel:DWORD
	v_fma_f16 v11, v28, v56, -v11
	v_mul_f16_sdwa v28, v29, v18 dst_sel:DWORD dst_unused:UNUSED_PAD src0_sel:WORD_1 src1_sel:DWORD
	s_waitcnt lgkmcnt(0)
	v_lshrrev_b32_e32 v22, 16, v24
	v_fma_f16 v28, v29, v13, v28
	v_mul_f16_sdwa v13, v29, v13 dst_sel:DWORD dst_unused:UNUSED_PAD src0_sel:WORD_1 src1_sel:DWORD
	v_fma_f16 v13, v29, v18, -v13
	v_mul_f16_sdwa v18, v30, v22 dst_sel:DWORD dst_unused:UNUSED_PAD src0_sel:WORD_1 src1_sel:DWORD
	v_fma_f16 v18, v30, v24, v18
	v_mul_f16_sdwa v24, v30, v24 dst_sel:DWORD dst_unused:UNUSED_PAD src0_sel:WORD_1 src1_sel:DWORD
	v_add_f16_e32 v29, v57, v4
	v_lshrrev_b32_e32 v14, 16, v0
	v_fma_f16 v22, v30, v22, -v24
	v_add_f16_e32 v24, v0, v57
	v_fma_f16 v0, v29, -0.5, v0
	v_sub_f16_e32 v29, v3, v15
	v_fma_f16 v30, v29, s19, v0
	v_fma_f16 v0, v29, s18, v0
	v_add_f16_e32 v29, v14, v3
	v_add_f16_e32 v3, v3, v15
	ds_read2_b32 v[8:9], v31 offset0:50 offset1:75
	v_add_f16_e32 v24, v24, v4
	v_add_f16_e32 v29, v29, v15
	v_fma_f16 v3, v3, -0.5, v14
	v_sub_f16_e32 v4, v57, v4
	v_add_f16_e32 v15, v6, v23
	v_lshrrev_b32_e32 v17, 16, v1
	v_fma_f16 v14, v4, s18, v3
	v_fma_f16 v3, v4, s19, v3
	v_add_f16_e32 v4, v1, v6
	v_fma_f16 v1, v15, -0.5, v1
	v_sub_f16_e32 v15, v19, v5
	v_fma_f16 v52, v15, s19, v1
	v_fma_f16 v1, v15, s18, v1
	v_add_f16_e32 v15, v17, v19
	v_add_f16_e32 v15, v15, v5
	;; [unrolled: 1-line block ×3, first 2 shown]
	v_fma_f16 v5, v5, -0.5, v17
	v_sub_f16_e32 v6, v6, v23
	v_add_f16_e32 v19, v21, v10
	s_waitcnt lgkmcnt(0)
	v_lshrrev_b32_e32 v51, 16, v8
	v_fma_f16 v17, v6, s18, v5
	v_fma_f16 v5, v6, s19, v5
	v_add_f16_e32 v6, v8, v21
	v_fma_f16 v8, v19, -0.5, v8
	v_sub_f16_e32 v19, v7, v25
	v_add_f16_e32 v4, v4, v23
	v_fma_f16 v23, v19, s19, v8
	v_fma_f16 v8, v19, s18, v8
	v_add_f16_e32 v19, v51, v7
	v_add_f16_e32 v7, v7, v25
	;; [unrolled: 1-line block ×4, first 2 shown]
	v_fma_f16 v7, v7, -0.5, v51
	v_sub_f16_e32 v10, v21, v10
	v_add_f16_e32 v25, v26, v27
	v_lshrrev_b32_e32 v54, 16, v9
	v_fma_f16 v21, v10, s18, v7
	v_fma_f16 v7, v10, s19, v7
	v_add_f16_e32 v10, v9, v26
	v_fma_f16 v9, v25, -0.5, v9
	v_sub_f16_e32 v25, v12, v11
	v_fma_f16 v51, v25, s19, v9
	v_fma_f16 v9, v25, s18, v9
	v_add_f16_e32 v25, v54, v12
	v_add_f16_e32 v25, v25, v11
	v_add_f16_e32 v11, v12, v11
	v_add_f16_e32 v10, v10, v27
	v_fma_f16 v11, v11, -0.5, v54
	v_sub_f16_e32 v12, v26, v27
	v_add_f16_e32 v27, v28, v18
	v_lshrrev_b32_e32 v16, 16, v2
	v_fma_f16 v26, v12, s18, v11
	v_fma_f16 v11, v12, s19, v11
	v_add_f16_e32 v12, v2, v28
	v_fma_f16 v2, v27, -0.5, v2
	v_sub_f16_e32 v27, v13, v22
	v_fma_f16 v53, v27, s19, v2
	v_fma_f16 v2, v27, s18, v2
	v_add_f16_e32 v27, v16, v13
	v_add_f16_e32 v13, v13, v22
	v_fma_f16 v13, v13, -0.5, v16
	v_sub_f16_e32 v16, v28, v18
	v_pack_b32_f16 v0, v0, v3
	v_add_f16_e32 v12, v12, v18
	v_fma_f16 v18, v16, s18, v13
	v_fma_f16 v13, v16, s19, v13
	v_pack_b32_f16 v16, v24, v29
	v_pack_b32_f16 v14, v30, v14
	ds_write_b32 v31, v0 offset:1000
	v_pack_b32_f16 v0, v4, v15
	ds_write_b32 v31, v14 offset:500
	ds_write2_b32 v31, v16, v0 offset1:25
	v_pack_b32_f16 v0, v52, v17
	v_pack_b32_f16 v1, v1, v5
	v_pack_b32_f16 v3, v23, v21
	ds_write_b32 v31, v1 offset:1100
	v_pack_b32_f16 v1, v6, v19
	ds_write2_b32 v31, v0, v3 offset0:150 offset1:175
	v_pack_b32_f16 v3, v10, v25
	v_add_f16_e32 v27, v27, v22
	v_pack_b32_f16 v0, v8, v7
	ds_write2_b32 v31, v1, v3 offset0:50 offset1:75
	v_pack_b32_f16 v3, v9, v11
	ds_write2_b32 v49, v0, v3 offset0:44 offset1:69
	v_pack_b32_f16 v0, v12, v27
	v_pack_b32_f16 v1, v51, v26
	ds_write_b32 v31, v0 offset:400
	v_pack_b32_f16 v0, v53, v18
	ds_write2_b32 v31, v1, v0 offset0:200 offset1:225
	v_pack_b32_f16 v0, v2, v13
	ds_write_b32 v31, v0 offset:1400
	s_waitcnt lgkmcnt(0)
	s_barrier
	ds_read2_b32 v[2:3], v31 offset1:25
	v_mad_u64_u32 v[4:5], s[0:1], s10, v20, 0
	s_movk_i32 s10, 0x40f
	s_waitcnt lgkmcnt(0)
	v_lshrrev_b32_e32 v7, 16, v2
	v_mul_f16_sdwa v0, v50, v7 dst_sel:DWORD dst_unused:UNUSED_PAD src0_sel:WORD_1 src1_sel:DWORD
	v_fma_f16 v0, v50, v2, v0
	v_cvt_f32_f16_e32 v0, v0
	v_mad_u64_u32 v[5:6], s[0:1], s11, v20, v[5:6]
	v_mul_f16_sdwa v2, v50, v2 dst_sel:DWORD dst_unused:UNUSED_PAD src0_sel:WORD_1 src1_sel:DWORD
	v_cvt_f64_f32_e32 v[0:1], v0
	v_fma_f16 v2, v50, v7, -v2
	v_cvt_f32_f16_e32 v2, v2
	s_mov_b32 s11, 0x8000
	v_mul_f64 v[0:1], v[0:1], s[2:3]
	v_lshlrev_b64 v[4:5], 2, v[4:5]
	v_and_or_b32 v0, v1, s6, v0
	v_cmp_ne_u32_e32 vcc, 0, v0
	v_cndmask_b32_e64 v0, 0, 1, vcc
	v_lshrrev_b32_e32 v6, 8, v1
	v_bfe_u32 v8, v1, 20, 11
	v_and_or_b32 v0, v6, s7, v0
	v_sub_u32_e32 v9, 0x3f1, v8
	v_or_b32_e32 v6, 0x1000, v0
	v_med3_i32 v9, v9, 0, 13
	v_lshrrev_b32_e32 v10, v9, v6
	v_lshlrev_b32_e32 v9, v9, v10
	v_cmp_ne_u32_e32 vcc, v9, v6
	v_cndmask_b32_e64 v6, 0, 1, vcc
	v_add_u32_e32 v9, 0xfffffc10, v8
	v_or_b32_e32 v6, v10, v6
	v_lshl_or_b32 v8, v9, 12, v0
	v_cmp_gt_i32_e32 vcc, 1, v9
	v_cndmask_b32_e32 v6, v8, v6, vcc
	v_and_b32_e32 v8, 7, v6
	v_cmp_lt_i32_e32 vcc, 5, v8
	v_cmp_eq_u32_e64 s[0:1], 3, v8
	v_lshrrev_b32_e32 v6, 2, v6
	s_or_b64 vcc, s[0:1], vcc
	v_addc_co_u32_e32 v10, vcc, 0, v6, vcc
	v_cvt_f64_f32_e32 v[6:7], v2
	v_mov_b32_e32 v8, 0x7c00
	v_cmp_gt_i32_e32 vcc, 31, v9
	v_cndmask_b32_e32 v2, v8, v10, vcc
	v_mul_f64 v[6:7], v[6:7], s[2:3]
	v_cmp_ne_u32_e32 vcc, 0, v0
	v_cndmask_b32_e64 v0, 0, 1, vcc
	v_lshl_or_b32 v0, v0, 9, v8
	v_cmp_eq_u32_e32 vcc, s10, v9
	v_cndmask_b32_e32 v0, v2, v0, vcc
	v_lshrrev_b32_e32 v1, 16, v1
	v_and_or_b32 v11, v1, s11, v0
	v_and_or_b32 v0, v7, s6, v6
	v_cmp_ne_u32_e32 vcc, 0, v0
	v_cndmask_b32_e64 v0, 0, 1, vcc
	v_lshrrev_b32_e32 v1, 8, v7
	v_bfe_u32 v2, v7, 20, 11
	v_and_or_b32 v0, v1, s7, v0
	v_sub_u32_e32 v6, 0x3f1, v2
	v_or_b32_e32 v1, 0x1000, v0
	v_med3_i32 v6, v6, 0, 13
	v_lshrrev_b32_e32 v9, v6, v1
	v_lshlrev_b32_e32 v6, v6, v9
	v_cmp_ne_u32_e32 vcc, v6, v1
	v_cndmask_b32_e64 v1, 0, 1, vcc
	v_add_u32_e32 v2, 0xfffffc10, v2
	v_or_b32_e32 v1, v9, v1
	v_lshl_or_b32 v6, v2, 12, v0
	v_cmp_gt_i32_e32 vcc, 1, v2
	v_cndmask_b32_e32 v1, v6, v1, vcc
	v_and_b32_e32 v6, 7, v1
	v_cmp_lt_i32_e32 vcc, 5, v6
	v_cmp_eq_u32_e64 s[0:1], 3, v6
	v_lshrrev_b32_e32 v1, 2, v1
	s_or_b64 vcc, s[0:1], vcc
	v_addc_co_u32_e32 v1, vcc, 0, v1, vcc
	v_cmp_gt_i32_e32 vcc, 31, v2
	v_cndmask_b32_e32 v1, v8, v1, vcc
	v_cmp_ne_u32_e32 vcc, 0, v0
	v_cndmask_b32_e64 v0, 0, 1, vcc
	v_lshl_or_b32 v0, v0, 9, v8
	v_cmp_eq_u32_e32 vcc, s10, v2
	v_mad_u64_u32 v[9:10], s[0:1], s8, v48, 0
	v_cndmask_b32_e32 v12, v1, v0, vcc
	ds_read2_b32 v[0:1], v31 offset0:50 offset1:75
	v_mov_b32_e32 v2, v10
	v_lshrrev_b32_e32 v13, 16, v7
	v_mad_u64_u32 v[6:7], s[0:1], s9, v48, v[2:3]
	s_waitcnt lgkmcnt(0)
	v_lshrrev_b32_e32 v2, 16, v1
	v_mul_f16_sdwa v7, v47, v2 dst_sel:DWORD dst_unused:UNUSED_PAD src0_sel:WORD_1 src1_sel:DWORD
	v_fma_f16 v7, v47, v1, v7
	v_cvt_f32_f16_e32 v7, v7
	v_mov_b32_e32 v10, v6
	v_and_or_b32 v12, v13, s11, v12
	v_and_b32_e32 v11, 0xffff, v11
	v_cvt_f64_f32_e32 v[6:7], v7
	v_lshl_or_b32 v11, v12, 16, v11
	v_mov_b32_e32 v12, s5
	v_add_co_u32_e32 v13, vcc, s4, v4
	v_mul_f64 v[6:7], v[6:7], s[2:3]
	v_addc_co_u32_e32 v12, vcc, v12, v5, vcc
	v_lshlrev_b64 v[4:5], 2, v[9:10]
	v_mul_f16_sdwa v1, v47, v1 dst_sel:DWORD dst_unused:UNUSED_PAD src0_sel:WORD_1 src1_sel:DWORD
	v_add_co_u32_e32 v9, vcc, v13, v4
	v_addc_co_u32_e32 v10, vcc, v12, v5, vcc
	v_and_or_b32 v4, v7, s6, v6
	v_cmp_ne_u32_e32 vcc, 0, v4
	v_fma_f16 v1, v47, v2, -v1
	v_cndmask_b32_e64 v4, 0, 1, vcc
	v_lshrrev_b32_e32 v5, 8, v7
	v_bfe_u32 v6, v7, 20, 11
	v_cvt_f32_f16_e32 v1, v1
	global_store_dword v[9:10], v11, off
	v_and_or_b32 v4, v5, s7, v4
	v_sub_u32_e32 v11, 0x3f1, v6
	v_or_b32_e32 v5, 0x1000, v4
	v_med3_i32 v11, v11, 0, 13
	v_lshrrev_b32_e32 v12, v11, v5
	v_lshlrev_b32_e32 v11, v11, v12
	v_cvt_f64_f32_e32 v[1:2], v1
	v_cmp_ne_u32_e32 vcc, v11, v5
	v_cndmask_b32_e64 v5, 0, 1, vcc
	v_add_u32_e32 v6, 0xfffffc10, v6
	v_or_b32_e32 v5, v12, v5
	v_lshl_or_b32 v11, v6, 12, v4
	v_cmp_gt_i32_e32 vcc, 1, v6
	v_cndmask_b32_e32 v5, v11, v5, vcc
	v_mul_f64 v[1:2], v[1:2], s[2:3]
	v_and_b32_e32 v11, 7, v5
	v_cmp_lt_i32_e32 vcc, 5, v11
	v_cmp_eq_u32_e64 s[0:1], 3, v11
	v_lshrrev_b32_e32 v5, 2, v5
	s_or_b64 vcc, s[0:1], vcc
	v_addc_co_u32_e32 v5, vcc, 0, v5, vcc
	v_cmp_gt_i32_e32 vcc, 31, v6
	v_cndmask_b32_e32 v5, v8, v5, vcc
	v_cmp_ne_u32_e32 vcc, 0, v4
	v_cndmask_b32_e64 v4, 0, 1, vcc
	v_lshl_or_b32 v4, v4, 9, v8
	v_cmp_eq_u32_e32 vcc, s10, v6
	v_and_or_b32 v1, v2, s6, v1
	v_cndmask_b32_e32 v4, v5, v4, vcc
	v_lshrrev_b32_e32 v5, 16, v7
	v_cmp_ne_u32_e32 vcc, 0, v1
	v_and_or_b32 v6, v5, s11, v4
	v_cndmask_b32_e64 v1, 0, 1, vcc
	v_lshrrev_b32_e32 v4, 8, v2
	v_bfe_u32 v5, v2, 20, 11
	v_and_or_b32 v1, v4, s7, v1
	v_sub_u32_e32 v7, 0x3f1, v5
	v_or_b32_e32 v4, 0x1000, v1
	v_med3_i32 v7, v7, 0, 13
	v_lshrrev_b32_e32 v11, v7, v4
	v_lshlrev_b32_e32 v7, v7, v11
	v_cmp_ne_u32_e32 vcc, v7, v4
	v_cndmask_b32_e64 v4, 0, 1, vcc
	v_add_u32_e32 v7, 0xfffffc10, v5
	v_or_b32_e32 v4, v11, v4
	v_lshl_or_b32 v5, v7, 12, v1
	v_cmp_gt_i32_e32 vcc, 1, v7
	v_cndmask_b32_e32 v4, v5, v4, vcc
	v_and_b32_e32 v5, 7, v4
	v_cmp_lt_i32_e32 vcc, 5, v5
	v_cmp_eq_u32_e64 s[0:1], 3, v5
	v_lshrrev_b32_e32 v4, 2, v4
	s_or_b64 vcc, s[0:1], vcc
	v_addc_co_u32_e32 v4, vcc, 0, v4, vcc
	v_cmp_gt_i32_e32 vcc, 31, v7
	v_cndmask_b32_e32 v11, v8, v4, vcc
	ds_read2_b32 v[4:5], v31 offset0:150 offset1:175
	v_cmp_ne_u32_e32 vcc, 0, v1
	v_cndmask_b32_e64 v1, 0, 1, vcc
	v_lshl_or_b32 v1, v1, 9, v8
	v_cmp_eq_u32_e32 vcc, s10, v7
	v_cndmask_b32_e32 v1, v11, v1, vcc
	s_waitcnt lgkmcnt(0)
	v_lshrrev_b32_e32 v11, 16, v4
	v_mul_f16_sdwa v7, v46, v11 dst_sel:DWORD dst_unused:UNUSED_PAD src0_sel:WORD_1 src1_sel:DWORD
	v_fma_f16 v7, v46, v4, v7
	v_cvt_f32_f16_e32 v7, v7
	v_lshrrev_b32_e32 v2, 16, v2
	v_and_or_b32 v1, v2, s11, v1
	v_and_b32_e32 v2, 0xffff, v6
	v_lshl_or_b32 v12, v1, 16, v2
	v_cvt_f64_f32_e32 v[1:2], v7
	s_mul_i32 s0, s9, 0x12c
	s_mul_hi_u32 s4, s8, 0x12c
	s_add_i32 s4, s4, s0
	v_mul_f64 v[1:2], v[1:2], s[2:3]
	s_mul_i32 s5, s8, 0x12c
	v_mov_b32_e32 v7, s4
	v_add_co_u32_e32 v6, vcc, s5, v9
	v_addc_co_u32_e32 v7, vcc, v10, v7, vcc
	global_store_dword v[6:7], v12, off
	v_and_or_b32 v1, v2, s6, v1
	v_cmp_ne_u32_e32 vcc, 0, v1
	v_cndmask_b32_e64 v1, 0, 1, vcc
	v_lshrrev_b32_e32 v9, 8, v2
	v_bfe_u32 v10, v2, 20, 11
	v_and_or_b32 v1, v9, s7, v1
	v_sub_u32_e32 v12, 0x3f1, v10
	v_or_b32_e32 v9, 0x1000, v1
	v_med3_i32 v12, v12, 0, 13
	v_lshrrev_b32_e32 v13, v12, v9
	v_lshlrev_b32_e32 v12, v12, v13
	v_mul_f16_sdwa v4, v46, v4 dst_sel:DWORD dst_unused:UNUSED_PAD src0_sel:WORD_1 src1_sel:DWORD
	v_cmp_ne_u32_e32 vcc, v12, v9
	v_fma_f16 v4, v46, v11, -v4
	v_cndmask_b32_e64 v9, 0, 1, vcc
	v_add_u32_e32 v12, 0xfffffc10, v10
	v_cvt_f32_f16_e32 v4, v4
	v_or_b32_e32 v9, v13, v9
	v_lshl_or_b32 v10, v12, 12, v1
	v_cmp_gt_i32_e32 vcc, 1, v12
	v_cndmask_b32_e32 v9, v10, v9, vcc
	v_and_b32_e32 v10, 7, v9
	v_cmp_lt_i32_e32 vcc, 5, v10
	v_cmp_eq_u32_e64 s[0:1], 3, v10
	v_lshrrev_b32_e32 v11, 2, v9
	v_cvt_f64_f32_e32 v[9:10], v4
	s_or_b64 vcc, s[0:1], vcc
	v_addc_co_u32_e32 v4, vcc, 0, v11, vcc
	v_mul_f64 v[9:10], v[9:10], s[2:3]
	v_cmp_gt_i32_e32 vcc, 31, v12
	v_cndmask_b32_e32 v4, v8, v4, vcc
	v_cmp_ne_u32_e32 vcc, 0, v1
	v_cndmask_b32_e64 v1, 0, 1, vcc
	v_lshl_or_b32 v1, v1, 9, v8
	v_cmp_eq_u32_e32 vcc, s10, v12
	v_cndmask_b32_e32 v1, v4, v1, vcc
	v_lshrrev_b32_e32 v2, 16, v2
	v_and_or_b32 v4, v2, s11, v1
	v_and_or_b32 v1, v10, s6, v9
	v_cmp_ne_u32_e32 vcc, 0, v1
	v_cndmask_b32_e64 v1, 0, 1, vcc
	v_lshrrev_b32_e32 v2, 8, v10
	v_and_or_b32 v9, v2, s7, v1
	v_bfe_u32 v2, v10, 20, 11
	v_sub_u32_e32 v11, 0x3f1, v2
	v_or_b32_e32 v1, 0x1000, v9
	v_med3_i32 v11, v11, 0, 13
	v_lshrrev_b32_e32 v12, v11, v1
	v_lshlrev_b32_e32 v11, v11, v12
	v_cmp_ne_u32_e32 vcc, v11, v1
	v_cndmask_b32_e64 v1, 0, 1, vcc
	v_add_u32_e32 v11, 0xfffffc10, v2
	v_or_b32_e32 v1, v12, v1
	v_lshl_or_b32 v2, v11, 12, v9
	v_cmp_gt_i32_e32 vcc, 1, v11
	v_cndmask_b32_e32 v1, v2, v1, vcc
	v_and_b32_e32 v2, 7, v1
	v_cmp_lt_i32_e32 vcc, 5, v2
	v_cmp_eq_u32_e64 s[0:1], 3, v2
	v_lshrrev_b32_e32 v1, 2, v1
	s_or_b64 vcc, s[0:1], vcc
	v_addc_co_u32_e32 v12, vcc, 0, v1, vcc
	ds_read2_b32 v[1:2], v31 offset0:200 offset1:225
	v_cmp_gt_i32_e32 vcc, 31, v11
	v_cndmask_b32_e32 v12, v8, v12, vcc
	v_cmp_ne_u32_e32 vcc, 0, v9
	v_cndmask_b32_e64 v9, 0, 1, vcc
	s_waitcnt lgkmcnt(0)
	v_lshrrev_b32_e32 v13, 16, v2
	v_mul_f16_sdwa v14, v45, v13 dst_sel:DWORD dst_unused:UNUSED_PAD src0_sel:WORD_1 src1_sel:DWORD
	v_fma_f16 v14, v45, v2, v14
	v_cvt_f32_f16_e32 v14, v14
	v_lshl_or_b32 v9, v9, 9, v8
	v_cmp_eq_u32_e32 vcc, s10, v11
	v_cndmask_b32_e32 v9, v12, v9, vcc
	v_cvt_f64_f32_e32 v[11:12], v14
	v_lshrrev_b32_e32 v10, 16, v10
	v_and_or_b32 v14, v10, s11, v9
	v_and_b32_e32 v4, 0xffff, v4
	v_mul_f64 v[9:10], v[11:12], s[2:3]
	v_mov_b32_e32 v12, s4
	v_add_co_u32_e32 v11, vcc, s5, v6
	v_lshl_or_b32 v4, v14, 16, v4
	v_addc_co_u32_e32 v12, vcc, v7, v12, vcc
	global_store_dword v[11:12], v4, off
	v_and_or_b32 v4, v10, s6, v9
	v_cmp_ne_u32_e32 vcc, 0, v4
	v_cndmask_b32_e64 v4, 0, 1, vcc
	v_lshrrev_b32_e32 v6, 8, v10
	v_bfe_u32 v7, v10, 20, 11
	v_and_or_b32 v4, v6, s7, v4
	v_sub_u32_e32 v9, 0x3f1, v7
	v_or_b32_e32 v6, 0x1000, v4
	v_med3_i32 v9, v9, 0, 13
	v_lshrrev_b32_e32 v14, v9, v6
	v_lshlrev_b32_e32 v9, v9, v14
	v_mul_f16_sdwa v2, v45, v2 dst_sel:DWORD dst_unused:UNUSED_PAD src0_sel:WORD_1 src1_sel:DWORD
	v_cmp_ne_u32_e32 vcc, v9, v6
	v_fma_f16 v2, v45, v13, -v2
	v_cndmask_b32_e64 v6, 0, 1, vcc
	v_add_u32_e32 v9, 0xfffffc10, v7
	v_cvt_f32_f16_e32 v2, v2
	v_or_b32_e32 v6, v14, v6
	v_lshl_or_b32 v7, v9, 12, v4
	v_cmp_gt_i32_e32 vcc, 1, v9
	v_cndmask_b32_e32 v6, v7, v6, vcc
	v_and_b32_e32 v7, 7, v6
	v_cmp_lt_i32_e32 vcc, 5, v7
	v_cmp_eq_u32_e64 s[0:1], 3, v7
	v_lshrrev_b32_e32 v13, 2, v6
	v_cvt_f64_f32_e32 v[6:7], v2
	s_or_b64 vcc, s[0:1], vcc
	v_addc_co_u32_e32 v2, vcc, 0, v13, vcc
	v_mul_f64 v[13:14], v[6:7], s[2:3]
	v_cmp_gt_i32_e32 vcc, 31, v9
	v_cndmask_b32_e32 v2, v8, v2, vcc
	v_cmp_ne_u32_e32 vcc, 0, v4
	v_cndmask_b32_e64 v4, 0, 1, vcc
	v_lshl_or_b32 v4, v4, 9, v8
	v_cmp_eq_u32_e32 vcc, s10, v9
	v_cndmask_b32_e32 v2, v2, v4, vcc
	v_lshrrev_b32_e32 v4, 16, v10
	v_and_or_b32 v2, v4, s11, v2
	v_and_or_b32 v4, v14, s6, v13
	v_cmp_ne_u32_e32 vcc, 0, v4
	v_cndmask_b32_e64 v4, 0, 1, vcc
	v_lshrrev_b32_e32 v6, 8, v14
	v_bfe_u32 v7, v14, 20, 11
	v_and_or_b32 v4, v6, s7, v4
	v_sub_u32_e32 v9, 0x3f1, v7
	v_or_b32_e32 v6, 0x1000, v4
	v_med3_i32 v9, v9, 0, 13
	v_lshrrev_b32_e32 v10, v9, v6
	v_lshlrev_b32_e32 v9, v9, v10
	v_cmp_ne_u32_e32 vcc, v9, v6
	v_cndmask_b32_e64 v6, 0, 1, vcc
	v_add_u32_e32 v9, 0xfffffc10, v7
	v_or_b32_e32 v6, v10, v6
	v_lshl_or_b32 v7, v9, 12, v4
	v_cmp_gt_i32_e32 vcc, 1, v9
	v_cndmask_b32_e32 v6, v7, v6, vcc
	v_and_b32_e32 v7, 7, v6
	v_cmp_lt_i32_e32 vcc, 5, v7
	v_cmp_eq_u32_e64 s[0:1], 3, v7
	v_lshrrev_b32_e32 v6, 2, v6
	s_or_b64 vcc, s[0:1], vcc
	v_addc_co_u32_e32 v10, vcc, 0, v6, vcc
	ds_read2_b32 v[6:7], v49 offset0:44 offset1:69
	v_cmp_gt_i32_e32 vcc, 31, v9
	v_cndmask_b32_e32 v10, v8, v10, vcc
	v_cmp_ne_u32_e32 vcc, 0, v4
	v_cndmask_b32_e64 v4, 0, 1, vcc
	s_waitcnt lgkmcnt(0)
	v_lshrrev_b32_e32 v13, 16, v6
	v_mul_f16_sdwa v15, v44, v13 dst_sel:DWORD dst_unused:UNUSED_PAD src0_sel:WORD_1 src1_sel:DWORD
	v_fma_f16 v15, v44, v6, v15
	v_cvt_f32_f16_e32 v15, v15
	v_lshl_or_b32 v4, v4, 9, v8
	v_cmp_eq_u32_e32 vcc, s10, v9
	v_cndmask_b32_e32 v4, v10, v4, vcc
	v_cvt_f64_f32_e32 v[9:10], v15
	v_lshrrev_b32_e32 v14, 16, v14
	v_and_or_b32 v4, v14, s11, v4
	v_and_b32_e32 v2, 0xffff, v2
	v_mul_f64 v[9:10], v[9:10], s[2:3]
	v_lshl_or_b32 v2, v4, 16, v2
	v_mov_b32_e32 v4, s4
	v_add_co_u32_e32 v11, vcc, s5, v11
	v_addc_co_u32_e32 v12, vcc, v12, v4, vcc
	global_store_dword v[11:12], v2, off
	v_and_or_b32 v2, v10, s6, v9
	v_cmp_ne_u32_e32 vcc, 0, v2
	v_cndmask_b32_e64 v2, 0, 1, vcc
	v_lshrrev_b32_e32 v4, 8, v10
	v_bfe_u32 v9, v10, 20, 11
	v_and_or_b32 v2, v4, s7, v2
	v_sub_u32_e32 v14, 0x3f1, v9
	v_or_b32_e32 v4, 0x1000, v2
	v_med3_i32 v14, v14, 0, 13
	v_lshrrev_b32_e32 v15, v14, v4
	v_lshlrev_b32_e32 v14, v14, v15
	v_mul_f16_sdwa v6, v44, v6 dst_sel:DWORD dst_unused:UNUSED_PAD src0_sel:WORD_1 src1_sel:DWORD
	v_cmp_ne_u32_e32 vcc, v14, v4
	v_fma_f16 v6, v44, v13, -v6
	v_cndmask_b32_e64 v4, 0, 1, vcc
	v_add_u32_e32 v9, 0xfffffc10, v9
	v_cvt_f32_f16_e32 v6, v6
	v_or_b32_e32 v4, v15, v4
	v_lshl_or_b32 v14, v9, 12, v2
	v_cmp_gt_i32_e32 vcc, 1, v9
	v_cndmask_b32_e32 v4, v14, v4, vcc
	v_and_b32_e32 v14, 7, v4
	v_cmp_lt_i32_e32 vcc, 5, v14
	v_cmp_eq_u32_e64 s[0:1], 3, v14
	v_cvt_f64_f32_e32 v[13:14], v6
	v_lshrrev_b32_e32 v4, 2, v4
	s_or_b64 vcc, s[0:1], vcc
	v_addc_co_u32_e32 v4, vcc, 0, v4, vcc
	v_mul_f64 v[13:14], v[13:14], s[2:3]
	v_cmp_gt_i32_e32 vcc, 31, v9
	v_cndmask_b32_e32 v4, v8, v4, vcc
	v_cmp_ne_u32_e32 vcc, 0, v2
	v_cndmask_b32_e64 v2, 0, 1, vcc
	v_lshl_or_b32 v2, v2, 9, v8
	v_cmp_eq_u32_e32 vcc, s10, v9
	v_cndmask_b32_e32 v2, v4, v2, vcc
	v_lshrrev_b32_e32 v4, 16, v10
	v_and_or_b32 v2, v4, s11, v2
	v_and_or_b32 v4, v14, s6, v13
	v_cmp_ne_u32_e32 vcc, 0, v4
	v_cndmask_b32_e64 v4, 0, 1, vcc
	v_lshrrev_b32_e32 v6, 8, v14
	v_bfe_u32 v9, v14, 20, 11
	v_and_or_b32 v4, v6, s7, v4
	v_sub_u32_e32 v10, 0x3f1, v9
	v_or_b32_e32 v6, 0x1000, v4
	v_med3_i32 v10, v10, 0, 13
	v_lshrrev_b32_e32 v13, v10, v6
	v_lshlrev_b32_e32 v10, v10, v13
	v_cmp_ne_u32_e32 vcc, v10, v6
	v_cndmask_b32_e64 v6, 0, 1, vcc
	v_add_u32_e32 v9, 0xfffffc10, v9
	v_or_b32_e32 v6, v13, v6
	v_lshl_or_b32 v10, v9, 12, v4
	v_cmp_gt_i32_e32 vcc, 1, v9
	v_cndmask_b32_e32 v6, v10, v6, vcc
	v_and_b32_e32 v10, 7, v6
	v_lshrrev_b32_e32 v13, 16, v3
	v_cmp_lt_i32_e32 vcc, 5, v10
	v_cmp_eq_u32_e64 s[0:1], 3, v10
	v_mul_f16_sdwa v10, v42, v13 dst_sel:DWORD dst_unused:UNUSED_PAD src0_sel:WORD_1 src1_sel:DWORD
	v_fma_f16 v10, v42, v3, v10
	v_lshrrev_b32_e32 v6, 2, v6
	s_or_b64 vcc, s[0:1], vcc
	v_cvt_f32_f16_e32 v10, v10
	v_addc_co_u32_e32 v6, vcc, 0, v6, vcc
	v_cmp_gt_i32_e32 vcc, 31, v9
	v_cndmask_b32_e32 v6, v8, v6, vcc
	v_cmp_ne_u32_e32 vcc, 0, v4
	v_cndmask_b32_e64 v4, 0, 1, vcc
	v_cmp_eq_u32_e32 vcc, s10, v9
	v_cvt_f64_f32_e32 v[9:10], v10
	v_lshl_or_b32 v4, v4, 9, v8
	v_cndmask_b32_e32 v4, v6, v4, vcc
	v_lshrrev_b32_e32 v6, 16, v14
	v_mul_f64 v[9:10], v[9:10], s[2:3]
	v_and_or_b32 v4, v6, s11, v4
	v_and_b32_e32 v2, 0xffff, v2
	v_lshl_or_b32 v2, v4, 16, v2
	v_mov_b32_e32 v4, s4
	v_add_co_u32_e32 v11, vcc, s5, v11
	v_addc_co_u32_e32 v12, vcc, v12, v4, vcc
	global_store_dword v[11:12], v2, off
	v_and_or_b32 v2, v10, s6, v9
	v_cmp_ne_u32_e32 vcc, 0, v2
	v_cndmask_b32_e64 v2, 0, 1, vcc
	v_lshrrev_b32_e32 v4, 8, v10
	v_and_or_b32 v6, v4, s7, v2
	v_bfe_u32 v4, v10, 20, 11
	v_sub_u32_e32 v9, 0x3f1, v4
	v_or_b32_e32 v2, 0x1000, v6
	v_med3_i32 v9, v9, 0, 13
	v_lshrrev_b32_e32 v14, v9, v2
	v_lshlrev_b32_e32 v9, v9, v14
	v_mul_f16_sdwa v3, v42, v3 dst_sel:DWORD dst_unused:UNUSED_PAD src0_sel:WORD_1 src1_sel:DWORD
	v_cmp_ne_u32_e32 vcc, v9, v2
	v_fma_f16 v3, v42, v13, -v3
	v_cndmask_b32_e64 v2, 0, 1, vcc
	v_add_u32_e32 v9, 0xfffffc10, v4
	v_cvt_f32_f16_e32 v3, v3
	v_or_b32_e32 v2, v14, v2
	v_lshl_or_b32 v4, v9, 12, v6
	v_cmp_gt_i32_e32 vcc, 1, v9
	v_cndmask_b32_e32 v2, v4, v2, vcc
	v_and_b32_e32 v4, 7, v2
	v_cmp_lt_i32_e32 vcc, 5, v4
	v_cmp_eq_u32_e64 s[0:1], 3, v4
	v_lshrrev_b32_e32 v4, 2, v2
	v_cvt_f64_f32_e32 v[2:3], v3
	s_or_b64 vcc, s[0:1], vcc
	v_addc_co_u32_e32 v4, vcc, 0, v4, vcc
	v_cmp_gt_i32_e32 vcc, 31, v9
	v_cndmask_b32_e32 v13, v8, v4, vcc
	v_mul_f64 v[3:4], v[2:3], s[2:3]
	v_cmp_ne_u32_e32 vcc, 0, v6
	v_cndmask_b32_e64 v2, 0, 1, vcc
	v_lshl_or_b32 v2, v2, 9, v8
	v_cmp_eq_u32_e32 vcc, s10, v9
	v_cndmask_b32_e32 v2, v13, v2, vcc
	v_lshrrev_b32_e32 v6, 16, v10
	v_and_or_b32 v6, v6, s11, v2
	v_and_or_b32 v2, v4, s6, v3
	v_cmp_ne_u32_e32 vcc, 0, v2
	v_cndmask_b32_e64 v2, 0, 1, vcc
	v_lshrrev_b32_e32 v3, 8, v4
	v_and_or_b32 v9, v3, s7, v2
	v_bfe_u32 v3, v4, 20, 11
	v_sub_u32_e32 v10, 0x3f1, v3
	v_or_b32_e32 v2, 0x1000, v9
	v_med3_i32 v10, v10, 0, 13
	v_lshrrev_b32_e32 v13, v10, v2
	v_lshlrev_b32_e32 v10, v10, v13
	v_cmp_ne_u32_e32 vcc, v10, v2
	v_cndmask_b32_e64 v2, 0, 1, vcc
	v_add_u32_e32 v10, 0xfffffc10, v3
	v_or_b32_e32 v2, v13, v2
	v_lshl_or_b32 v3, v10, 12, v9
	v_cmp_gt_i32_e32 vcc, 1, v10
	v_cndmask_b32_e32 v2, v3, v2, vcc
	v_and_b32_e32 v3, 7, v2
	v_cmp_lt_i32_e32 vcc, 5, v3
	v_cmp_eq_u32_e64 s[0:1], 3, v3
	v_lshrrev_b32_e32 v2, 2, v2
	s_or_b64 vcc, s[0:1], vcc
	v_addc_co_u32_e32 v13, vcc, 0, v2, vcc
	ds_read2_b32 v[2:3], v31 offset0:100 offset1:125
	v_cmp_gt_i32_e32 vcc, 31, v10
	v_cndmask_b32_e32 v13, v8, v13, vcc
	v_cmp_ne_u32_e32 vcc, 0, v9
	v_cndmask_b32_e64 v9, 0, 1, vcc
	s_waitcnt lgkmcnt(0)
	v_lshrrev_b32_e32 v14, 16, v2
	v_mul_f16_sdwa v15, v41, v14 dst_sel:DWORD dst_unused:UNUSED_PAD src0_sel:WORD_1 src1_sel:DWORD
	v_fma_f16 v15, v41, v2, v15
	v_cvt_f32_f16_e32 v15, v15
	v_lshl_or_b32 v9, v9, 9, v8
	v_cmp_eq_u32_e32 vcc, s10, v10
	v_cndmask_b32_e32 v13, v13, v9, vcc
	v_cvt_f64_f32_e32 v[9:10], v15
	v_mad_u64_u32 v[11:12], s[0:1], s8, v34, v[11:12]
	v_lshrrev_b32_e32 v4, 16, v4
	v_mul_f64 v[9:10], v[9:10], s[2:3]
	s_mul_i32 s0, s9, 0xfffffbb4
	v_and_or_b32 v4, v4, s11, v13
	v_and_b32_e32 v6, 0xffff, v6
	s_sub_i32 s9, s0, s8
	v_lshl_or_b32 v4, v4, 16, v6
	v_add_u32_e32 v12, s9, v12
	global_store_dword v[11:12], v4, off
	v_and_or_b32 v4, v10, s6, v9
	v_cmp_ne_u32_e32 vcc, 0, v4
	v_cndmask_b32_e64 v4, 0, 1, vcc
	v_lshrrev_b32_e32 v6, 8, v10
	v_bfe_u32 v9, v10, 20, 11
	v_and_or_b32 v4, v6, s7, v4
	v_sub_u32_e32 v13, 0x3f1, v9
	v_or_b32_e32 v6, 0x1000, v4
	v_med3_i32 v13, v13, 0, 13
	v_lshrrev_b32_e32 v15, v13, v6
	v_lshlrev_b32_e32 v13, v13, v15
	v_mul_f16_sdwa v2, v41, v2 dst_sel:DWORD dst_unused:UNUSED_PAD src0_sel:WORD_1 src1_sel:DWORD
	v_cmp_ne_u32_e32 vcc, v13, v6
	v_fma_f16 v2, v41, v14, -v2
	v_cndmask_b32_e64 v6, 0, 1, vcc
	v_add_u32_e32 v9, 0xfffffc10, v9
	v_cvt_f32_f16_e32 v2, v2
	v_or_b32_e32 v6, v15, v6
	v_lshl_or_b32 v13, v9, 12, v4
	v_cmp_gt_i32_e32 vcc, 1, v9
	v_cndmask_b32_e32 v6, v13, v6, vcc
	v_and_b32_e32 v13, 7, v6
	v_cmp_lt_i32_e32 vcc, 5, v13
	v_cmp_eq_u32_e64 s[0:1], 3, v13
	v_cvt_f64_f32_e32 v[13:14], v2
	v_lshrrev_b32_e32 v6, 2, v6
	s_or_b64 vcc, s[0:1], vcc
	v_addc_co_u32_e32 v2, vcc, 0, v6, vcc
	v_mul_f64 v[13:14], v[13:14], s[2:3]
	v_cmp_gt_i32_e32 vcc, 31, v9
	v_cndmask_b32_e32 v2, v8, v2, vcc
	v_cmp_ne_u32_e32 vcc, 0, v4
	v_cndmask_b32_e64 v4, 0, 1, vcc
	v_lshl_or_b32 v4, v4, 9, v8
	v_cmp_eq_u32_e32 vcc, s10, v9
	v_cndmask_b32_e32 v2, v2, v4, vcc
	v_lshrrev_b32_e32 v4, 16, v10
	v_and_or_b32 v2, v4, s11, v2
	v_and_or_b32 v4, v14, s6, v13
	v_cmp_ne_u32_e32 vcc, 0, v4
	v_cndmask_b32_e64 v4, 0, 1, vcc
	v_lshrrev_b32_e32 v6, 8, v14
	v_bfe_u32 v9, v14, 20, 11
	v_and_or_b32 v4, v6, s7, v4
	v_sub_u32_e32 v10, 0x3f1, v9
	v_or_b32_e32 v6, 0x1000, v4
	v_med3_i32 v10, v10, 0, 13
	v_lshrrev_b32_e32 v13, v10, v6
	v_lshlrev_b32_e32 v10, v10, v13
	v_cmp_ne_u32_e32 vcc, v10, v6
	v_cndmask_b32_e64 v6, 0, 1, vcc
	v_add_u32_e32 v9, 0xfffffc10, v9
	v_or_b32_e32 v6, v13, v6
	v_lshl_or_b32 v10, v9, 12, v4
	v_cmp_gt_i32_e32 vcc, 1, v9
	v_cndmask_b32_e32 v6, v10, v6, vcc
	v_and_b32_e32 v10, 7, v6
	v_lshrrev_b32_e32 v13, 16, v5
	v_cmp_lt_i32_e32 vcc, 5, v10
	v_cmp_eq_u32_e64 s[0:1], 3, v10
	v_mul_f16_sdwa v10, v40, v13 dst_sel:DWORD dst_unused:UNUSED_PAD src0_sel:WORD_1 src1_sel:DWORD
	v_fma_f16 v10, v40, v5, v10
	v_lshrrev_b32_e32 v6, 2, v6
	s_or_b64 vcc, s[0:1], vcc
	v_cvt_f32_f16_e32 v10, v10
	v_addc_co_u32_e32 v6, vcc, 0, v6, vcc
	v_cmp_gt_i32_e32 vcc, 31, v9
	v_cndmask_b32_e32 v6, v8, v6, vcc
	v_cmp_ne_u32_e32 vcc, 0, v4
	v_cndmask_b32_e64 v4, 0, 1, vcc
	v_cmp_eq_u32_e32 vcc, s10, v9
	v_cvt_f64_f32_e32 v[9:10], v10
	v_lshl_or_b32 v4, v4, 9, v8
	v_cndmask_b32_e32 v4, v6, v4, vcc
	v_lshrrev_b32_e32 v6, 16, v14
	v_mul_f64 v[9:10], v[9:10], s[2:3]
	v_and_or_b32 v4, v6, s11, v4
	v_and_b32_e32 v2, 0xffff, v2
	v_lshl_or_b32 v2, v4, 16, v2
	v_mov_b32_e32 v4, s4
	v_add_co_u32_e32 v11, vcc, s5, v11
	v_addc_co_u32_e32 v12, vcc, v12, v4, vcc
	global_store_dword v[11:12], v2, off
	v_and_or_b32 v2, v10, s6, v9
	v_cmp_ne_u32_e32 vcc, 0, v2
	v_cndmask_b32_e64 v2, 0, 1, vcc
	v_lshrrev_b32_e32 v4, 8, v10
	v_bfe_u32 v6, v10, 20, 11
	v_and_or_b32 v2, v4, s7, v2
	v_sub_u32_e32 v9, 0x3f1, v6
	v_or_b32_e32 v4, 0x1000, v2
	v_med3_i32 v9, v9, 0, 13
	v_lshrrev_b32_e32 v14, v9, v4
	v_lshlrev_b32_e32 v9, v9, v14
	v_mul_f16_sdwa v5, v40, v5 dst_sel:DWORD dst_unused:UNUSED_PAD src0_sel:WORD_1 src1_sel:DWORD
	v_cmp_ne_u32_e32 vcc, v9, v4
	v_fma_f16 v5, v40, v13, -v5
	v_cndmask_b32_e64 v4, 0, 1, vcc
	v_add_u32_e32 v9, 0xfffffc10, v6
	v_cvt_f32_f16_e32 v5, v5
	v_or_b32_e32 v4, v14, v4
	v_lshl_or_b32 v6, v9, 12, v2
	v_cmp_gt_i32_e32 vcc, 1, v9
	v_cndmask_b32_e32 v4, v6, v4, vcc
	v_and_b32_e32 v6, 7, v4
	v_cmp_lt_i32_e32 vcc, 5, v6
	v_cmp_eq_u32_e64 s[0:1], 3, v6
	v_lshrrev_b32_e32 v6, 2, v4
	v_cvt_f64_f32_e32 v[4:5], v5
	s_or_b64 vcc, s[0:1], vcc
	v_addc_co_u32_e32 v6, vcc, 0, v6, vcc
	v_cmp_gt_i32_e32 vcc, 31, v9
	v_cndmask_b32_e32 v13, v8, v6, vcc
	v_mul_f64 v[5:6], v[4:5], s[2:3]
	v_cmp_ne_u32_e32 vcc, 0, v2
	v_cndmask_b32_e64 v2, 0, 1, vcc
	v_lshl_or_b32 v2, v2, 9, v8
	v_cmp_eq_u32_e32 vcc, s10, v9
	v_cndmask_b32_e32 v2, v13, v2, vcc
	v_lshrrev_b32_e32 v4, 16, v10
	v_and_or_b32 v2, v4, s11, v2
	v_and_or_b32 v4, v6, s6, v5
	v_cmp_ne_u32_e32 vcc, 0, v4
	v_cndmask_b32_e64 v4, 0, 1, vcc
	v_lshrrev_b32_e32 v5, 8, v6
	v_and_or_b32 v9, v5, s7, v4
	v_bfe_u32 v5, v6, 20, 11
	v_sub_u32_e32 v10, 0x3f1, v5
	v_or_b32_e32 v4, 0x1000, v9
	v_med3_i32 v10, v10, 0, 13
	v_lshrrev_b32_e32 v13, v10, v4
	v_lshlrev_b32_e32 v10, v10, v13
	v_cmp_ne_u32_e32 vcc, v10, v4
	v_cndmask_b32_e64 v4, 0, 1, vcc
	v_add_u32_e32 v10, 0xfffffc10, v5
	v_or_b32_e32 v4, v13, v4
	v_lshl_or_b32 v5, v10, 12, v9
	v_cmp_gt_i32_e32 vcc, 1, v10
	v_cndmask_b32_e32 v4, v5, v4, vcc
	v_and_b32_e32 v5, 7, v4
	v_cmp_lt_i32_e32 vcc, 5, v5
	v_cmp_eq_u32_e64 s[0:1], 3, v5
	v_lshrrev_b32_e32 v4, 2, v4
	s_or_b64 vcc, s[0:1], vcc
	v_addc_co_u32_e32 v13, vcc, 0, v4, vcc
	ds_read2_b32 v[4:5], v43 offset0:122 offset1:147
	v_cmp_gt_i32_e32 vcc, 31, v10
	v_cndmask_b32_e32 v13, v8, v13, vcc
	v_cmp_ne_u32_e32 vcc, 0, v9
	v_cndmask_b32_e64 v9, 0, 1, vcc
	s_waitcnt lgkmcnt(0)
	v_lshrrev_b32_e32 v14, 16, v4
	v_mul_f16_sdwa v15, v39, v14 dst_sel:DWORD dst_unused:UNUSED_PAD src0_sel:WORD_1 src1_sel:DWORD
	v_fma_f16 v15, v39, v4, v15
	v_cvt_f32_f16_e32 v15, v15
	v_lshl_or_b32 v9, v9, 9, v8
	v_cmp_eq_u32_e32 vcc, s10, v10
	v_cndmask_b32_e32 v13, v13, v9, vcc
	v_cvt_f64_f32_e32 v[9:10], v15
	v_lshrrev_b32_e32 v6, 16, v6
	v_and_or_b32 v6, v6, s11, v13
	v_and_b32_e32 v2, 0xffff, v2
	v_mul_f64 v[9:10], v[9:10], s[2:3]
	v_lshl_or_b32 v2, v6, 16, v2
	v_mov_b32_e32 v6, s4
	v_add_co_u32_e32 v11, vcc, s5, v11
	v_addc_co_u32_e32 v12, vcc, v12, v6, vcc
	global_store_dword v[11:12], v2, off
	v_and_or_b32 v2, v10, s6, v9
	v_cmp_ne_u32_e32 vcc, 0, v2
	v_cndmask_b32_e64 v2, 0, 1, vcc
	v_lshrrev_b32_e32 v6, 8, v10
	v_bfe_u32 v9, v10, 20, 11
	v_and_or_b32 v2, v6, s7, v2
	v_sub_u32_e32 v13, 0x3f1, v9
	v_or_b32_e32 v6, 0x1000, v2
	v_med3_i32 v13, v13, 0, 13
	v_lshrrev_b32_e32 v15, v13, v6
	v_lshlrev_b32_e32 v13, v13, v15
	v_mul_f16_sdwa v4, v39, v4 dst_sel:DWORD dst_unused:UNUSED_PAD src0_sel:WORD_1 src1_sel:DWORD
	v_cmp_ne_u32_e32 vcc, v13, v6
	v_fma_f16 v4, v39, v14, -v4
	v_cndmask_b32_e64 v6, 0, 1, vcc
	v_add_u32_e32 v9, 0xfffffc10, v9
	v_cvt_f32_f16_e32 v4, v4
	v_or_b32_e32 v6, v15, v6
	v_lshl_or_b32 v13, v9, 12, v2
	v_cmp_gt_i32_e32 vcc, 1, v9
	v_cndmask_b32_e32 v6, v13, v6, vcc
	v_and_b32_e32 v13, 7, v6
	v_cmp_lt_i32_e32 vcc, 5, v13
	v_cmp_eq_u32_e64 s[0:1], 3, v13
	v_cvt_f64_f32_e32 v[13:14], v4
	v_lshrrev_b32_e32 v6, 2, v6
	s_or_b64 vcc, s[0:1], vcc
	v_addc_co_u32_e32 v4, vcc, 0, v6, vcc
	v_mul_f64 v[13:14], v[13:14], s[2:3]
	v_cmp_gt_i32_e32 vcc, 31, v9
	v_cndmask_b32_e32 v4, v8, v4, vcc
	v_cmp_ne_u32_e32 vcc, 0, v2
	v_cndmask_b32_e64 v2, 0, 1, vcc
	v_lshl_or_b32 v2, v2, 9, v8
	v_cmp_eq_u32_e32 vcc, s10, v9
	v_cndmask_b32_e32 v2, v4, v2, vcc
	v_lshrrev_b32_e32 v4, 16, v10
	v_and_or_b32 v2, v4, s11, v2
	v_and_or_b32 v4, v14, s6, v13
	v_cmp_ne_u32_e32 vcc, 0, v4
	v_cndmask_b32_e64 v4, 0, 1, vcc
	v_lshrrev_b32_e32 v6, 8, v14
	v_bfe_u32 v9, v14, 20, 11
	v_and_or_b32 v4, v6, s7, v4
	v_sub_u32_e32 v10, 0x3f1, v9
	v_or_b32_e32 v6, 0x1000, v4
	v_med3_i32 v10, v10, 0, 13
	v_lshrrev_b32_e32 v13, v10, v6
	v_lshlrev_b32_e32 v10, v10, v13
	v_cmp_ne_u32_e32 vcc, v10, v6
	v_cndmask_b32_e64 v6, 0, 1, vcc
	v_add_u32_e32 v9, 0xfffffc10, v9
	v_or_b32_e32 v6, v13, v6
	v_lshl_or_b32 v10, v9, 12, v4
	v_cmp_gt_i32_e32 vcc, 1, v9
	v_cndmask_b32_e32 v6, v10, v6, vcc
	v_and_b32_e32 v10, 7, v6
	v_lshrrev_b32_e32 v13, 16, v7
	v_cmp_lt_i32_e32 vcc, 5, v10
	v_cmp_eq_u32_e64 s[0:1], 3, v10
	v_mul_f16_sdwa v10, v38, v13 dst_sel:DWORD dst_unused:UNUSED_PAD src0_sel:WORD_1 src1_sel:DWORD
	v_fma_f16 v10, v38, v7, v10
	v_lshrrev_b32_e32 v6, 2, v6
	s_or_b64 vcc, s[0:1], vcc
	v_cvt_f32_f16_e32 v10, v10
	v_addc_co_u32_e32 v6, vcc, 0, v6, vcc
	v_cmp_gt_i32_e32 vcc, 31, v9
	v_cndmask_b32_e32 v6, v8, v6, vcc
	v_cmp_ne_u32_e32 vcc, 0, v4
	v_cndmask_b32_e64 v4, 0, 1, vcc
	v_cmp_eq_u32_e32 vcc, s10, v9
	v_cvt_f64_f32_e32 v[9:10], v10
	v_lshl_or_b32 v4, v4, 9, v8
	v_cndmask_b32_e32 v4, v6, v4, vcc
	v_lshrrev_b32_e32 v6, 16, v14
	v_mul_f64 v[9:10], v[9:10], s[2:3]
	v_and_or_b32 v4, v6, s11, v4
	v_and_b32_e32 v2, 0xffff, v2
	v_lshl_or_b32 v2, v4, 16, v2
	v_mov_b32_e32 v4, s4
	v_add_co_u32_e32 v11, vcc, s5, v11
	v_addc_co_u32_e32 v12, vcc, v12, v4, vcc
	global_store_dword v[11:12], v2, off
	v_and_or_b32 v2, v10, s6, v9
	v_cmp_ne_u32_e32 vcc, 0, v2
	v_cndmask_b32_e64 v2, 0, 1, vcc
	v_lshrrev_b32_e32 v4, 8, v10
	v_bfe_u32 v6, v10, 20, 11
	v_and_or_b32 v2, v4, s7, v2
	v_sub_u32_e32 v9, 0x3f1, v6
	v_or_b32_e32 v4, 0x1000, v2
	v_med3_i32 v9, v9, 0, 13
	v_lshrrev_b32_e32 v14, v9, v4
	v_lshlrev_b32_e32 v9, v9, v14
	v_mul_f16_sdwa v7, v38, v7 dst_sel:DWORD dst_unused:UNUSED_PAD src0_sel:WORD_1 src1_sel:DWORD
	v_cmp_ne_u32_e32 vcc, v9, v4
	v_fma_f16 v7, v38, v13, -v7
	v_cndmask_b32_e64 v4, 0, 1, vcc
	v_add_u32_e32 v9, 0xfffffc10, v6
	v_cvt_f32_f16_e32 v7, v7
	v_or_b32_e32 v4, v14, v4
	v_lshl_or_b32 v6, v9, 12, v2
	v_cmp_gt_i32_e32 vcc, 1, v9
	v_cndmask_b32_e32 v4, v6, v4, vcc
	v_and_b32_e32 v6, 7, v4
	v_cmp_lt_i32_e32 vcc, 5, v6
	v_cmp_eq_u32_e64 s[0:1], 3, v6
	v_cvt_f64_f32_e32 v[6:7], v7
	v_lshrrev_b32_e32 v4, 2, v4
	s_or_b64 vcc, s[0:1], vcc
	v_addc_co_u32_e32 v4, vcc, 0, v4, vcc
	v_mul_f64 v[6:7], v[6:7], s[2:3]
	v_cmp_gt_i32_e32 vcc, 31, v9
	v_cndmask_b32_e32 v4, v8, v4, vcc
	v_cmp_ne_u32_e32 vcc, 0, v2
	v_cndmask_b32_e64 v2, 0, 1, vcc
	v_lshl_or_b32 v2, v2, 9, v8
	v_cmp_eq_u32_e32 vcc, s10, v9
	v_cndmask_b32_e32 v2, v4, v2, vcc
	v_lshrrev_b32_e32 v4, 16, v10
	v_and_or_b32 v2, v4, s11, v2
	v_and_or_b32 v4, v7, s6, v6
	v_cmp_ne_u32_e32 vcc, 0, v4
	v_cndmask_b32_e64 v4, 0, 1, vcc
	v_lshrrev_b32_e32 v6, 8, v7
	v_bfe_u32 v9, v7, 20, 11
	v_and_or_b32 v4, v6, s7, v4
	v_sub_u32_e32 v10, 0x3f1, v9
	v_or_b32_e32 v6, 0x1000, v4
	v_med3_i32 v10, v10, 0, 13
	v_lshrrev_b32_e32 v13, v10, v6
	v_lshlrev_b32_e32 v10, v10, v13
	v_cmp_ne_u32_e32 vcc, v10, v6
	v_cndmask_b32_e64 v6, 0, 1, vcc
	v_add_u32_e32 v9, 0xfffffc10, v9
	v_or_b32_e32 v6, v13, v6
	v_lshl_or_b32 v10, v9, 12, v4
	v_cmp_gt_i32_e32 vcc, 1, v9
	v_cndmask_b32_e32 v6, v10, v6, vcc
	v_and_b32_e32 v10, 7, v6
	v_lshrrev_b32_e32 v13, 16, v0
	v_cmp_lt_i32_e32 vcc, 5, v10
	v_cmp_eq_u32_e64 s[0:1], 3, v10
	v_mul_f16_sdwa v10, v37, v13 dst_sel:DWORD dst_unused:UNUSED_PAD src0_sel:WORD_1 src1_sel:DWORD
	v_fma_f16 v10, v37, v0, v10
	v_lshrrev_b32_e32 v6, 2, v6
	s_or_b64 vcc, s[0:1], vcc
	v_cvt_f32_f16_e32 v10, v10
	v_addc_co_u32_e32 v6, vcc, 0, v6, vcc
	v_cmp_gt_i32_e32 vcc, 31, v9
	v_cndmask_b32_e32 v6, v8, v6, vcc
	v_cmp_ne_u32_e32 vcc, 0, v4
	v_cndmask_b32_e64 v4, 0, 1, vcc
	v_cmp_eq_u32_e32 vcc, s10, v9
	v_cvt_f64_f32_e32 v[9:10], v10
	v_lshl_or_b32 v4, v4, 9, v8
	v_cndmask_b32_e32 v4, v6, v4, vcc
	v_lshrrev_b32_e32 v6, 16, v7
	v_and_or_b32 v4, v6, s11, v4
	v_mul_f64 v[6:7], v[9:10], s[2:3]
	v_and_b32_e32 v2, 0xffff, v2
	v_lshl_or_b32 v2, v4, 16, v2
	v_mov_b32_e32 v4, s4
	v_add_co_u32_e32 v9, vcc, s5, v11
	v_addc_co_u32_e32 v10, vcc, v12, v4, vcc
	global_store_dword v[9:10], v2, off
	v_and_or_b32 v2, v7, s6, v6
	v_cmp_ne_u32_e32 vcc, 0, v2
	v_cndmask_b32_e64 v2, 0, 1, vcc
	v_lshrrev_b32_e32 v4, 8, v7
	v_bfe_u32 v6, v7, 20, 11
	v_and_or_b32 v2, v4, s7, v2
	v_sub_u32_e32 v11, 0x3f1, v6
	v_or_b32_e32 v4, 0x1000, v2
	v_med3_i32 v11, v11, 0, 13
	v_lshrrev_b32_e32 v12, v11, v4
	v_lshlrev_b32_e32 v11, v11, v12
	v_mul_f16_sdwa v0, v37, v0 dst_sel:DWORD dst_unused:UNUSED_PAD src0_sel:WORD_1 src1_sel:DWORD
	v_cmp_ne_u32_e32 vcc, v11, v4
	v_fma_f16 v0, v37, v13, -v0
	v_cndmask_b32_e64 v4, 0, 1, vcc
	v_add_u32_e32 v6, 0xfffffc10, v6
	v_cvt_f32_f16_e32 v0, v0
	v_or_b32_e32 v4, v12, v4
	v_lshl_or_b32 v11, v6, 12, v2
	v_cmp_gt_i32_e32 vcc, 1, v6
	v_cndmask_b32_e32 v4, v11, v4, vcc
	v_and_b32_e32 v11, 7, v4
	v_cmp_lt_i32_e32 vcc, 5, v11
	v_cmp_eq_u32_e64 s[0:1], 3, v11
	v_cvt_f64_f32_e32 v[11:12], v0
	v_lshrrev_b32_e32 v4, 2, v4
	s_or_b64 vcc, s[0:1], vcc
	v_addc_co_u32_e32 v0, vcc, 0, v4, vcc
	v_mul_f64 v[11:12], v[11:12], s[2:3]
	v_cmp_gt_i32_e32 vcc, 31, v6
	v_cndmask_b32_e32 v0, v8, v0, vcc
	v_cmp_ne_u32_e32 vcc, 0, v2
	v_cndmask_b32_e64 v2, 0, 1, vcc
	v_lshl_or_b32 v2, v2, 9, v8
	v_cmp_eq_u32_e32 vcc, s10, v6
	v_cndmask_b32_e32 v0, v0, v2, vcc
	v_lshrrev_b32_e32 v2, 16, v7
	v_and_or_b32 v0, v2, s11, v0
	v_and_or_b32 v2, v12, s6, v11
	v_cmp_ne_u32_e32 vcc, 0, v2
	v_cndmask_b32_e64 v2, 0, 1, vcc
	v_lshrrev_b32_e32 v4, 8, v12
	v_bfe_u32 v6, v12, 20, 11
	v_and_or_b32 v2, v4, s7, v2
	v_sub_u32_e32 v7, 0x3f1, v6
	v_or_b32_e32 v4, 0x1000, v2
	v_med3_i32 v7, v7, 0, 13
	v_lshrrev_b32_e32 v11, v7, v4
	v_lshlrev_b32_e32 v7, v7, v11
	v_cmp_ne_u32_e32 vcc, v7, v4
	v_cndmask_b32_e64 v4, 0, 1, vcc
	v_or_b32_e32 v4, v11, v4
	v_add_u32_e32 v11, 0xfffffc10, v6
	v_lshl_or_b32 v6, v11, 12, v2
	v_cmp_gt_i32_e32 vcc, 1, v11
	v_cndmask_b32_e32 v4, v6, v4, vcc
	v_and_b32_e32 v6, 7, v4
	v_lshrrev_b32_e32 v13, 16, v3
	v_cmp_lt_i32_e32 vcc, 5, v6
	v_cmp_eq_u32_e64 s[0:1], 3, v6
	v_mul_f16_sdwa v6, v35, v13 dst_sel:DWORD dst_unused:UNUSED_PAD src0_sel:WORD_1 src1_sel:DWORD
	v_fma_f16 v6, v35, v3, v6
	v_cvt_f32_f16_e32 v6, v6
	v_lshrrev_b32_e32 v4, 2, v4
	s_or_b64 vcc, s[0:1], vcc
	v_addc_co_u32_e32 v4, vcc, 0, v4, vcc
	v_cvt_f64_f32_e32 v[6:7], v6
	v_cmp_gt_i32_e32 vcc, 31, v11
	v_cndmask_b32_e32 v4, v8, v4, vcc
	v_cmp_ne_u32_e32 vcc, 0, v2
	v_mul_f64 v[6:7], v[6:7], s[2:3]
	v_cndmask_b32_e64 v2, 0, 1, vcc
	v_mad_u64_u32 v[9:10], s[0:1], s8, v34, v[9:10]
	v_lshl_or_b32 v2, v2, 9, v8
	v_cmp_eq_u32_e32 vcc, s10, v11
	v_cndmask_b32_e32 v2, v4, v2, vcc
	v_lshrrev_b32_e32 v4, 16, v12
	v_and_or_b32 v2, v4, s11, v2
	v_and_b32_e32 v0, 0xffff, v0
	v_lshl_or_b32 v0, v2, 16, v0
	v_add_u32_e32 v10, s9, v10
	global_store_dword v[9:10], v0, off
	v_and_or_b32 v0, v7, s6, v6
	v_cmp_ne_u32_e32 vcc, 0, v0
	v_cndmask_b32_e64 v0, 0, 1, vcc
	v_lshrrev_b32_e32 v2, 8, v7
	v_bfe_u32 v4, v7, 20, 11
	v_and_or_b32 v0, v2, s7, v0
	v_sub_u32_e32 v6, 0x3f1, v4
	v_or_b32_e32 v2, 0x1000, v0
	v_med3_i32 v6, v6, 0, 13
	v_lshrrev_b32_e32 v11, v6, v2
	v_lshlrev_b32_e32 v6, v6, v11
	v_mul_f16_sdwa v3, v35, v3 dst_sel:DWORD dst_unused:UNUSED_PAD src0_sel:WORD_1 src1_sel:DWORD
	v_cmp_ne_u32_e32 vcc, v6, v2
	v_fma_f16 v3, v35, v13, -v3
	v_cndmask_b32_e64 v2, 0, 1, vcc
	v_add_u32_e32 v4, 0xfffffc10, v4
	v_cvt_f32_f16_e32 v3, v3
	v_or_b32_e32 v2, v11, v2
	v_lshl_or_b32 v6, v4, 12, v0
	v_cmp_gt_i32_e32 vcc, 1, v4
	v_cndmask_b32_e32 v2, v6, v2, vcc
	v_and_b32_e32 v6, 7, v2
	v_cmp_lt_i32_e32 vcc, 5, v6
	v_cmp_eq_u32_e64 s[0:1], 3, v6
	v_lshrrev_b32_e32 v6, 2, v2
	v_cvt_f64_f32_e32 v[2:3], v3
	s_or_b64 vcc, s[0:1], vcc
	v_addc_co_u32_e32 v6, vcc, 0, v6, vcc
	v_mul_f64 v[2:3], v[2:3], s[2:3]
	v_cmp_gt_i32_e32 vcc, 31, v4
	v_cndmask_b32_e32 v6, v8, v6, vcc
	v_cmp_ne_u32_e32 vcc, 0, v0
	v_cndmask_b32_e64 v0, 0, 1, vcc
	v_lshl_or_b32 v0, v0, 9, v8
	v_cmp_eq_u32_e32 vcc, s10, v4
	v_cndmask_b32_e32 v0, v6, v0, vcc
	v_and_or_b32 v2, v3, s6, v2
	v_lshrrev_b32_e32 v4, 16, v7
	v_cmp_ne_u32_e32 vcc, 0, v2
	v_and_or_b32 v0, v4, s11, v0
	v_cndmask_b32_e64 v2, 0, 1, vcc
	v_lshrrev_b32_e32 v4, 8, v3
	v_bfe_u32 v6, v3, 20, 11
	v_and_or_b32 v2, v4, s7, v2
	v_sub_u32_e32 v7, 0x3f1, v6
	v_or_b32_e32 v4, 0x1000, v2
	v_med3_i32 v7, v7, 0, 13
	v_lshrrev_b32_e32 v11, v7, v4
	v_lshlrev_b32_e32 v7, v7, v11
	v_cmp_ne_u32_e32 vcc, v7, v4
	v_cndmask_b32_e64 v4, 0, 1, vcc
	v_add_u32_e32 v6, 0xfffffc10, v6
	v_or_b32_e32 v4, v11, v4
	v_lshl_or_b32 v7, v6, 12, v2
	v_cmp_gt_i32_e32 vcc, 1, v6
	v_cndmask_b32_e32 v4, v7, v4, vcc
	v_and_b32_e32 v7, 7, v4
	v_lshrrev_b32_e32 v11, 16, v1
	v_cmp_lt_i32_e32 vcc, 5, v7
	v_cmp_eq_u32_e64 s[0:1], 3, v7
	v_mul_f16_sdwa v7, v36, v11 dst_sel:DWORD dst_unused:UNUSED_PAD src0_sel:WORD_1 src1_sel:DWORD
	v_fma_f16 v7, v36, v1, v7
	v_lshrrev_b32_e32 v4, 2, v4
	s_or_b64 vcc, s[0:1], vcc
	v_cvt_f32_f16_e32 v7, v7
	v_addc_co_u32_e32 v4, vcc, 0, v4, vcc
	v_cmp_gt_i32_e32 vcc, 31, v6
	v_cndmask_b32_e32 v4, v8, v4, vcc
	v_cmp_ne_u32_e32 vcc, 0, v2
	v_cndmask_b32_e64 v2, 0, 1, vcc
	v_cmp_eq_u32_e32 vcc, s10, v6
	v_cvt_f64_f32_e32 v[6:7], v7
	v_lshl_or_b32 v2, v2, 9, v8
	v_cndmask_b32_e32 v2, v4, v2, vcc
	v_lshrrev_b32_e32 v3, 16, v3
	v_and_or_b32 v4, v3, s11, v2
	v_mul_f64 v[2:3], v[6:7], s[2:3]
	v_and_b32_e32 v0, 0xffff, v0
	v_lshl_or_b32 v0, v4, 16, v0
	v_mov_b32_e32 v4, s4
	v_add_co_u32_e32 v6, vcc, s5, v9
	v_addc_co_u32_e32 v7, vcc, v10, v4, vcc
	global_store_dword v[6:7], v0, off
	v_and_or_b32 v0, v3, s6, v2
	v_cmp_ne_u32_e32 vcc, 0, v0
	v_cndmask_b32_e64 v0, 0, 1, vcc
	v_lshrrev_b32_e32 v2, 8, v3
	v_bfe_u32 v4, v3, 20, 11
	v_and_or_b32 v2, v2, s7, v0
	v_sub_u32_e32 v9, 0x3f1, v4
	v_or_b32_e32 v0, 0x1000, v2
	v_med3_i32 v9, v9, 0, 13
	v_lshrrev_b32_e32 v10, v9, v0
	v_lshlrev_b32_e32 v9, v9, v10
	v_mul_f16_sdwa v1, v36, v1 dst_sel:DWORD dst_unused:UNUSED_PAD src0_sel:WORD_1 src1_sel:DWORD
	v_cmp_ne_u32_e32 vcc, v9, v0
	v_fma_f16 v1, v36, v11, -v1
	v_cndmask_b32_e64 v0, 0, 1, vcc
	v_add_u32_e32 v4, 0xfffffc10, v4
	v_cvt_f32_f16_e32 v1, v1
	v_or_b32_e32 v0, v10, v0
	v_lshl_or_b32 v9, v4, 12, v2
	v_cmp_gt_i32_e32 vcc, 1, v4
	v_cndmask_b32_e32 v0, v9, v0, vcc
	v_and_b32_e32 v9, 7, v0
	v_cmp_lt_i32_e32 vcc, 5, v9
	v_cmp_eq_u32_e64 s[0:1], 3, v9
	v_lshrrev_b32_e32 v9, 2, v0
	v_cvt_f64_f32_e32 v[0:1], v1
	s_or_b64 vcc, s[0:1], vcc
	v_addc_co_u32_e32 v9, vcc, 0, v9, vcc
	v_mul_f64 v[0:1], v[0:1], s[2:3]
	v_cmp_gt_i32_e32 vcc, 31, v4
	v_cndmask_b32_e32 v9, v8, v9, vcc
	v_cmp_ne_u32_e32 vcc, 0, v2
	v_cndmask_b32_e64 v2, 0, 1, vcc
	v_lshl_or_b32 v2, v2, 9, v8
	v_cmp_eq_u32_e32 vcc, s10, v4
	v_cndmask_b32_e32 v2, v9, v2, vcc
	v_and_or_b32 v0, v1, s6, v0
	v_lshrrev_b32_e32 v3, 16, v3
	v_cmp_ne_u32_e32 vcc, 0, v0
	v_and_or_b32 v4, v3, s11, v2
	v_cndmask_b32_e64 v0, 0, 1, vcc
	v_lshrrev_b32_e32 v2, 8, v1
	v_bfe_u32 v3, v1, 20, 11
	v_and_or_b32 v0, v2, s7, v0
	v_sub_u32_e32 v9, 0x3f1, v3
	v_or_b32_e32 v2, 0x1000, v0
	v_med3_i32 v9, v9, 0, 13
	v_lshrrev_b32_e32 v10, v9, v2
	v_lshlrev_b32_e32 v9, v9, v10
	v_cmp_ne_u32_e32 vcc, v9, v2
	v_cndmask_b32_e64 v2, 0, 1, vcc
	v_add_u32_e32 v3, 0xfffffc10, v3
	v_or_b32_e32 v2, v10, v2
	v_lshl_or_b32 v9, v3, 12, v0
	v_cmp_gt_i32_e32 vcc, 1, v3
	v_cndmask_b32_e32 v2, v9, v2, vcc
	v_and_b32_e32 v9, 7, v2
	v_cmp_lt_i32_e32 vcc, 5, v9
	v_cmp_eq_u32_e64 s[0:1], 3, v9
	v_lshrrev_b32_e32 v9, 16, v5
	v_lshrrev_b32_e32 v2, 2, v2
	s_or_b64 vcc, s[0:1], vcc
	v_mul_f16_sdwa v10, v33, v9 dst_sel:DWORD dst_unused:UNUSED_PAD src0_sel:WORD_1 src1_sel:DWORD
	v_addc_co_u32_e32 v2, vcc, 0, v2, vcc
	v_fma_f16 v10, v33, v5, v10
	v_cmp_gt_i32_e32 vcc, 31, v3
	v_cvt_f32_f16_e32 v10, v10
	v_cndmask_b32_e32 v2, v8, v2, vcc
	v_cmp_ne_u32_e32 vcc, 0, v0
	v_cndmask_b32_e64 v0, 0, 1, vcc
	v_lshl_or_b32 v0, v0, 9, v8
	v_cmp_eq_u32_e32 vcc, s10, v3
	v_cndmask_b32_e32 v0, v2, v0, vcc
	v_cvt_f64_f32_e32 v[2:3], v10
	v_lshrrev_b32_e32 v1, 16, v1
	v_and_or_b32 v10, v1, s11, v0
	v_and_b32_e32 v4, 0xffff, v4
	v_mul_f64 v[0:1], v[2:3], s[2:3]
	v_mov_b32_e32 v3, s4
	v_add_co_u32_e32 v2, vcc, s5, v6
	v_addc_co_u32_e32 v3, vcc, v7, v3, vcc
	v_lshl_or_b32 v4, v10, 16, v4
	global_store_dword v[2:3], v4, off
	v_and_or_b32 v0, v1, s6, v0
	v_cmp_ne_u32_e32 vcc, 0, v0
	v_cndmask_b32_e64 v0, 0, 1, vcc
	v_lshrrev_b32_e32 v4, 8, v1
	v_bfe_u32 v6, v1, 20, 11
	v_and_or_b32 v0, v4, s7, v0
	v_sub_u32_e32 v7, 0x3f1, v6
	v_or_b32_e32 v4, 0x1000, v0
	v_med3_i32 v7, v7, 0, 13
	v_lshrrev_b32_e32 v10, v7, v4
	v_lshlrev_b32_e32 v7, v7, v10
	v_mul_f16_sdwa v5, v33, v5 dst_sel:DWORD dst_unused:UNUSED_PAD src0_sel:WORD_1 src1_sel:DWORD
	v_cmp_ne_u32_e32 vcc, v7, v4
	v_fma_f16 v5, v33, v9, -v5
	v_cndmask_b32_e64 v4, 0, 1, vcc
	v_add_u32_e32 v6, 0xfffffc10, v6
	v_cvt_f32_f16_e32 v5, v5
	v_or_b32_e32 v4, v10, v4
	v_lshl_or_b32 v7, v6, 12, v0
	v_cmp_gt_i32_e32 vcc, 1, v6
	v_cndmask_b32_e32 v4, v7, v4, vcc
	v_and_b32_e32 v7, 7, v4
	v_cmp_lt_i32_e32 vcc, 5, v7
	v_cmp_eq_u32_e64 s[0:1], 3, v7
	v_lshrrev_b32_e32 v7, 2, v4
	v_cvt_f64_f32_e32 v[4:5], v5
	s_or_b64 vcc, s[0:1], vcc
	v_addc_co_u32_e32 v7, vcc, 0, v7, vcc
	v_mul_f64 v[4:5], v[4:5], s[2:3]
	v_cmp_gt_i32_e32 vcc, 31, v6
	v_cndmask_b32_e32 v7, v8, v7, vcc
	v_cmp_ne_u32_e32 vcc, 0, v0
	v_cndmask_b32_e64 v0, 0, 1, vcc
	v_lshl_or_b32 v0, v0, 9, v8
	v_cmp_eq_u32_e32 vcc, s10, v6
	v_cndmask_b32_e32 v0, v7, v0, vcc
	v_lshrrev_b32_e32 v1, 16, v1
	v_and_or_b32 v6, v1, s11, v0
	v_and_or_b32 v0, v5, s6, v4
	v_cmp_ne_u32_e32 vcc, 0, v0
	v_cndmask_b32_e64 v0, 0, 1, vcc
	v_lshrrev_b32_e32 v1, 8, v5
	v_bfe_u32 v4, v5, 20, 11
	v_and_or_b32 v0, v1, s7, v0
	v_sub_u32_e32 v7, 0x3f1, v4
	v_or_b32_e32 v1, 0x1000, v0
	v_med3_i32 v7, v7, 0, 13
	v_lshrrev_b32_e32 v9, v7, v1
	v_lshlrev_b32_e32 v7, v7, v9
	v_cmp_ne_u32_e32 vcc, v7, v1
	v_cndmask_b32_e64 v1, 0, 1, vcc
	v_add_u32_e32 v4, 0xfffffc10, v4
	v_or_b32_e32 v1, v9, v1
	v_lshl_or_b32 v7, v4, 12, v0
	v_cmp_gt_i32_e32 vcc, 1, v4
	v_cndmask_b32_e32 v1, v7, v1, vcc
	v_and_b32_e32 v7, 7, v1
	v_cmp_lt_i32_e32 vcc, 5, v7
	v_cmp_eq_u32_e64 s[0:1], 3, v7
	ds_read_b32 v7, v31 offset:1400
	v_lshrrev_b32_e32 v1, 2, v1
	s_or_b64 vcc, s[0:1], vcc
	v_addc_co_u32_e32 v1, vcc, 0, v1, vcc
	s_waitcnt lgkmcnt(0)
	v_lshrrev_b32_e32 v9, 16, v7
	v_mul_f16_sdwa v10, v32, v9 dst_sel:DWORD dst_unused:UNUSED_PAD src0_sel:WORD_1 src1_sel:DWORD
	v_fma_f16 v10, v32, v7, v10
	v_cmp_gt_i32_e32 vcc, 31, v4
	v_cvt_f32_f16_e32 v10, v10
	v_cndmask_b32_e32 v1, v8, v1, vcc
	v_cmp_ne_u32_e32 vcc, 0, v0
	v_cndmask_b32_e64 v0, 0, 1, vcc
	v_lshl_or_b32 v0, v0, 9, v8
	v_cmp_eq_u32_e32 vcc, s10, v4
	v_cndmask_b32_e32 v4, v1, v0, vcc
	v_cvt_f64_f32_e32 v[0:1], v10
	v_lshrrev_b32_e32 v5, 16, v5
	v_and_or_b32 v4, v5, s11, v4
	v_and_b32_e32 v5, 0xffff, v6
	v_mul_f64 v[0:1], v[0:1], s[2:3]
	v_lshl_or_b32 v4, v4, 16, v5
	v_mov_b32_e32 v5, s4
	v_add_co_u32_e32 v2, vcc, s5, v2
	v_addc_co_u32_e32 v3, vcc, v3, v5, vcc
	global_store_dword v[2:3], v4, off
	v_and_or_b32 v0, v1, s6, v0
	v_cmp_ne_u32_e32 vcc, 0, v0
	v_cndmask_b32_e64 v0, 0, 1, vcc
	v_lshrrev_b32_e32 v4, 8, v1
	v_bfe_u32 v5, v1, 20, 11
	v_and_or_b32 v0, v4, s7, v0
	v_sub_u32_e32 v6, 0x3f1, v5
	v_or_b32_e32 v4, 0x1000, v0
	v_med3_i32 v6, v6, 0, 13
	v_lshrrev_b32_e32 v10, v6, v4
	v_lshlrev_b32_e32 v6, v6, v10
	v_mul_f16_sdwa v7, v32, v7 dst_sel:DWORD dst_unused:UNUSED_PAD src0_sel:WORD_1 src1_sel:DWORD
	v_cmp_ne_u32_e32 vcc, v6, v4
	v_fma_f16 v7, v32, v9, -v7
	v_cndmask_b32_e64 v4, 0, 1, vcc
	v_add_u32_e32 v6, 0xfffffc10, v5
	v_cvt_f32_f16_e32 v7, v7
	v_or_b32_e32 v4, v10, v4
	v_lshl_or_b32 v5, v6, 12, v0
	v_cmp_gt_i32_e32 vcc, 1, v6
	v_cndmask_b32_e32 v4, v5, v4, vcc
	v_and_b32_e32 v5, 7, v4
	v_cmp_lt_i32_e32 vcc, 5, v5
	v_cmp_eq_u32_e64 s[0:1], 3, v5
	v_lshrrev_b32_e32 v9, 2, v4
	v_cvt_f64_f32_e32 v[4:5], v7
	s_or_b64 vcc, s[0:1], vcc
	v_addc_co_u32_e32 v7, vcc, 0, v9, vcc
	v_mul_f64 v[4:5], v[4:5], s[2:3]
	v_cmp_gt_i32_e32 vcc, 31, v6
	v_cndmask_b32_e32 v7, v8, v7, vcc
	v_cmp_ne_u32_e32 vcc, 0, v0
	v_cndmask_b32_e64 v0, 0, 1, vcc
	v_lshl_or_b32 v0, v0, 9, v8
	v_cmp_eq_u32_e32 vcc, s10, v6
	v_cndmask_b32_e32 v0, v7, v0, vcc
	v_lshrrev_b32_e32 v1, 16, v1
	v_and_or_b32 v0, v1, s11, v0
	v_and_or_b32 v1, v5, s6, v4
	v_cmp_ne_u32_e32 vcc, 0, v1
	v_cndmask_b32_e64 v1, 0, 1, vcc
	v_lshrrev_b32_e32 v4, 8, v5
	v_bfe_u32 v6, v5, 20, 11
	v_and_or_b32 v1, v4, s7, v1
	v_sub_u32_e32 v7, 0x3f1, v6
	v_or_b32_e32 v4, 0x1000, v1
	v_med3_i32 v7, v7, 0, 13
	v_lshrrev_b32_e32 v9, v7, v4
	v_lshlrev_b32_e32 v7, v7, v9
	v_cmp_ne_u32_e32 vcc, v7, v4
	v_cndmask_b32_e64 v4, 0, 1, vcc
	v_add_u32_e32 v6, 0xfffffc10, v6
	v_or_b32_e32 v4, v9, v4
	v_lshl_or_b32 v7, v6, 12, v1
	v_cmp_gt_i32_e32 vcc, 1, v6
	v_cndmask_b32_e32 v4, v7, v4, vcc
	v_and_b32_e32 v7, 7, v4
	v_cmp_lt_i32_e32 vcc, 5, v7
	v_cmp_eq_u32_e64 s[0:1], 3, v7
	v_lshrrev_b32_e32 v4, 2, v4
	s_or_b64 vcc, s[0:1], vcc
	v_addc_co_u32_e32 v4, vcc, 0, v4, vcc
	v_cmp_gt_i32_e32 vcc, 31, v6
	v_cndmask_b32_e32 v4, v8, v4, vcc
	v_cmp_ne_u32_e32 vcc, 0, v1
	v_cndmask_b32_e64 v1, 0, 1, vcc
	v_lshl_or_b32 v1, v1, 9, v8
	v_cmp_eq_u32_e32 vcc, s10, v6
	v_cndmask_b32_e32 v1, v4, v1, vcc
	v_lshrrev_b32_e32 v4, 16, v5
	v_and_or_b32 v1, v4, s11, v1
	v_and_b32_e32 v0, 0xffff, v0
	v_lshl_or_b32 v4, v1, 16, v0
	v_mov_b32_e32 v1, s4
	v_add_co_u32_e32 v0, vcc, s5, v2
	v_addc_co_u32_e32 v1, vcc, v3, v1, vcc
	global_store_dword v[0:1], v4, off
.LBB0_2:
	s_endpgm
	.section	.rodata,"a",@progbits
	.p2align	6, 0x0
	.amdhsa_kernel bluestein_single_back_len375_dim1_half_op_CI_CI
		.amdhsa_group_segment_fixed_size 7500
		.amdhsa_private_segment_fixed_size 0
		.amdhsa_kernarg_size 104
		.amdhsa_user_sgpr_count 6
		.amdhsa_user_sgpr_private_segment_buffer 1
		.amdhsa_user_sgpr_dispatch_ptr 0
		.amdhsa_user_sgpr_queue_ptr 0
		.amdhsa_user_sgpr_kernarg_segment_ptr 1
		.amdhsa_user_sgpr_dispatch_id 0
		.amdhsa_user_sgpr_flat_scratch_init 0
		.amdhsa_user_sgpr_private_segment_size 0
		.amdhsa_uses_dynamic_stack 0
		.amdhsa_system_sgpr_private_segment_wavefront_offset 0
		.amdhsa_system_sgpr_workgroup_id_x 1
		.amdhsa_system_sgpr_workgroup_id_y 0
		.amdhsa_system_sgpr_workgroup_id_z 0
		.amdhsa_system_sgpr_workgroup_info 0
		.amdhsa_system_vgpr_workitem_id 0
		.amdhsa_next_free_vgpr 84
		.amdhsa_next_free_sgpr 20
		.amdhsa_reserve_vcc 1
		.amdhsa_reserve_flat_scratch 0
		.amdhsa_float_round_mode_32 0
		.amdhsa_float_round_mode_16_64 0
		.amdhsa_float_denorm_mode_32 3
		.amdhsa_float_denorm_mode_16_64 3
		.amdhsa_dx10_clamp 1
		.amdhsa_ieee_mode 1
		.amdhsa_fp16_overflow 0
		.amdhsa_exception_fp_ieee_invalid_op 0
		.amdhsa_exception_fp_denorm_src 0
		.amdhsa_exception_fp_ieee_div_zero 0
		.amdhsa_exception_fp_ieee_overflow 0
		.amdhsa_exception_fp_ieee_underflow 0
		.amdhsa_exception_fp_ieee_inexact 0
		.amdhsa_exception_int_div_zero 0
	.end_amdhsa_kernel
	.text
.Lfunc_end0:
	.size	bluestein_single_back_len375_dim1_half_op_CI_CI, .Lfunc_end0-bluestein_single_back_len375_dim1_half_op_CI_CI
                                        ; -- End function
	.section	.AMDGPU.csdata,"",@progbits
; Kernel info:
; codeLenInByte = 21628
; NumSgprs: 24
; NumVgprs: 84
; ScratchSize: 0
; MemoryBound: 0
; FloatMode: 240
; IeeeMode: 1
; LDSByteSize: 7500 bytes/workgroup (compile time only)
; SGPRBlocks: 2
; VGPRBlocks: 20
; NumSGPRsForWavesPerEU: 24
; NumVGPRsForWavesPerEU: 84
; Occupancy: 3
; WaveLimiterHint : 1
; COMPUTE_PGM_RSRC2:SCRATCH_EN: 0
; COMPUTE_PGM_RSRC2:USER_SGPR: 6
; COMPUTE_PGM_RSRC2:TRAP_HANDLER: 0
; COMPUTE_PGM_RSRC2:TGID_X_EN: 1
; COMPUTE_PGM_RSRC2:TGID_Y_EN: 0
; COMPUTE_PGM_RSRC2:TGID_Z_EN: 0
; COMPUTE_PGM_RSRC2:TIDIG_COMP_CNT: 0
	.type	__hip_cuid_3068fb16323c026f,@object ; @__hip_cuid_3068fb16323c026f
	.section	.bss,"aw",@nobits
	.globl	__hip_cuid_3068fb16323c026f
__hip_cuid_3068fb16323c026f:
	.byte	0                               ; 0x0
	.size	__hip_cuid_3068fb16323c026f, 1

	.ident	"AMD clang version 19.0.0git (https://github.com/RadeonOpenCompute/llvm-project roc-6.4.0 25133 c7fe45cf4b819c5991fe208aaa96edf142730f1d)"
	.section	".note.GNU-stack","",@progbits
	.addrsig
	.addrsig_sym __hip_cuid_3068fb16323c026f
	.amdgpu_metadata
---
amdhsa.kernels:
  - .args:
      - .actual_access:  read_only
        .address_space:  global
        .offset:         0
        .size:           8
        .value_kind:     global_buffer
      - .actual_access:  read_only
        .address_space:  global
        .offset:         8
        .size:           8
        .value_kind:     global_buffer
      - .actual_access:  read_only
        .address_space:  global
        .offset:         16
        .size:           8
        .value_kind:     global_buffer
      - .actual_access:  read_only
        .address_space:  global
        .offset:         24
        .size:           8
        .value_kind:     global_buffer
      - .actual_access:  read_only
        .address_space:  global
        .offset:         32
        .size:           8
        .value_kind:     global_buffer
      - .offset:         40
        .size:           8
        .value_kind:     by_value
      - .address_space:  global
        .offset:         48
        .size:           8
        .value_kind:     global_buffer
      - .address_space:  global
        .offset:         56
        .size:           8
        .value_kind:     global_buffer
      - .address_space:  global
        .offset:         64
        .size:           8
        .value_kind:     global_buffer
      - .address_space:  global
        .offset:         72
        .size:           8
        .value_kind:     global_buffer
      - .offset:         80
        .size:           4
        .value_kind:     by_value
      - .address_space:  global
        .offset:         88
        .size:           8
        .value_kind:     global_buffer
      - .address_space:  global
        .offset:         96
        .size:           8
        .value_kind:     global_buffer
    .group_segment_fixed_size: 7500
    .kernarg_segment_align: 8
    .kernarg_segment_size: 104
    .language:       OpenCL C
    .language_version:
      - 2
      - 0
    .max_flat_workgroup_size: 125
    .name:           bluestein_single_back_len375_dim1_half_op_CI_CI
    .private_segment_fixed_size: 0
    .sgpr_count:     24
    .sgpr_spill_count: 0
    .symbol:         bluestein_single_back_len375_dim1_half_op_CI_CI.kd
    .uniform_work_group_size: 1
    .uses_dynamic_stack: false
    .vgpr_count:     84
    .vgpr_spill_count: 0
    .wavefront_size: 64
amdhsa.target:   amdgcn-amd-amdhsa--gfx906
amdhsa.version:
  - 1
  - 2
...

	.end_amdgpu_metadata
